;; amdgpu-corpus repo=ROCm/rocFFT kind=compiled arch=gfx950 opt=O3
	.text
	.amdgcn_target "amdgcn-amd-amdhsa--gfx950"
	.amdhsa_code_object_version 6
	.protected	bluestein_single_back_len780_dim1_sp_op_CI_CI ; -- Begin function bluestein_single_back_len780_dim1_sp_op_CI_CI
	.globl	bluestein_single_back_len780_dim1_sp_op_CI_CI
	.p2align	8
	.type	bluestein_single_back_len780_dim1_sp_op_CI_CI,@function
bluestein_single_back_len780_dim1_sp_op_CI_CI: ; @bluestein_single_back_len780_dim1_sp_op_CI_CI
; %bb.0:
	s_load_dwordx4 s[16:19], s[0:1], 0x28
	v_mul_u32_u24_e32 v1, 0x349, v0
	v_lshrrev_b32_e32 v2, 16, v1
	v_mad_u64_u32 v[66:67], s[2:3], s2, 3, v[2:3]
	v_mov_b32_e32 v59, 0
	v_mov_b32_e32 v67, v59
	s_waitcnt lgkmcnt(0)
	v_cmp_gt_u64_e32 vcc, s[16:17], v[66:67]
	s_and_saveexec_b64 s[2:3], vcc
	s_cbranch_execz .LBB0_18
; %bb.1:
	s_load_dwordx4 s[8:11], s[0:1], 0x18
	s_load_dwordx4 s[4:7], s[0:1], 0x0
	v_mul_lo_u16_e32 v1, 0x4e, v2
	v_sub_u16_e32 v58, v0, v1
	v_mov_b32_e32 v4, s18
	s_waitcnt lgkmcnt(0)
	s_load_dwordx4 s[12:15], s[8:9], 0x0
	v_mov_b32_e32 v5, s19
	v_mov_b32_e32 v22, 0xc30
	;; [unrolled: 1-line block ×3, first 2 shown]
	v_lshlrev_b32_e32 v52, 3, v58
	s_waitcnt lgkmcnt(0)
	v_mad_u64_u32 v[0:1], s[2:3], s14, v66, 0
	v_mov_b32_e32 v2, v1
	v_mad_u64_u32 v[2:3], s[2:3], s15, v66, v[2:3]
	v_mov_b32_e32 v1, v2
	;; [unrolled: 2-line block ×4, first 2 shown]
	v_lshl_add_u64 v[0:1], v[0:1], 3, v[4:5]
	v_lshl_add_u64 v[0:1], v[2:3], 3, v[0:1]
	global_load_dwordx2 v[2:3], v[0:1], off
	v_mad_u64_u32 v[0:1], s[2:3], s12, v22, v[0:1]
	s_mul_i32 s8, s13, 0xc30
	v_add_u32_e32 v1, s8, v1
	global_load_dwordx2 v[6:7], v[0:1], off
	v_mad_u64_u32 v[0:1], s[2:3], s12, v20, v[0:1]
	s_mul_i32 s2, s13, 0xfffff640
	s_sub_i32 s9, s2, s12
	v_add_u32_e32 v1, s9, v1
	v_mad_u64_u32 v[8:9], s[2:3], s12, v22, v[0:1]
	v_add_u32_e32 v9, s8, v9
	v_mad_u64_u32 v[10:11], s[2:3], s12, v20, v[8:9]
	global_load_dwordx2 v[80:81], v52, s[4:5]
	v_add_u32_e32 v11, s9, v11
	v_mov_b32_e32 v53, v59
	global_load_dwordx2 v[76:77], v52, s[4:5] offset:624
	global_load_dwordx2 v[78:79], v52, s[4:5] offset:3120
	;; [unrolled: 1-line block ×3, first 2 shown]
	global_load_dwordx2 v[12:13], v[0:1], off
	global_load_dwordx2 v[14:15], v[8:9], off
	;; [unrolled: 1-line block ×3, first 2 shown]
	global_load_dwordx2 v[68:69], v52, s[4:5] offset:1248
	v_mad_u64_u32 v[0:1], s[2:3], s12, v22, v[10:11]
	v_lshl_add_u64 v[4:5], s[4:5], 0, v[52:53]
	v_add_u32_e32 v1, s8, v1
	s_movk_i32 s2, 0x1000
	global_load_dwordx2 v[8:9], v[0:1], off
	v_add_co_u32_e32 v4, vcc, s2, v4
	v_mad_u64_u32 v[0:1], s[2:3], s12, v20, v[0:1]
	s_nop 0
	v_addc_co_u32_e32 v5, vcc, 0, v5, vcc
	v_add_u32_e32 v1, s9, v1
	global_load_dwordx2 v[72:73], v[4:5], off offset:272
	global_load_dwordx2 v[10:11], v[0:1], off
	global_load_dwordx2 v[70:71], v52, s[4:5] offset:1872
	v_mad_u64_u32 v[0:1], s[2:3], s12, v22, v[0:1]
	v_add_u32_e32 v1, s8, v1
	global_load_dwordx2 v[18:19], v[0:1], off
	global_load_dwordx2 v[64:65], v[4:5], off offset:896
	v_mad_u64_u32 v[0:1], s[2:3], s12, v20, v[0:1]
	v_add_u32_e32 v1, s9, v1
	global_load_dwordx2 v[20:21], v[0:1], off
	global_load_dwordx2 v[62:63], v52, s[4:5] offset:2496
	v_mad_u64_u32 v[0:1], s[2:3], s12, v22, v[0:1]
	v_add_u32_e32 v1, s8, v1
	global_load_dwordx2 v[60:61], v[4:5], off offset:1520
	global_load_dwordx2 v[22:23], v[0:1], off
	s_load_dwordx2 s[12:13], s[0:1], 0x38
	s_mov_b32 s0, 0xaaaaaaab
	v_mul_hi_u32 v0, v66, s0
	v_lshrrev_b32_e32 v0, 1, v0
	v_lshl_add_u32 v0, v0, 1, v0
	v_sub_u32_e32 v0, v66, v0
	v_mul_u32_u24_e32 v192, 0x30c, v0
	v_lshlrev_b32_e32 v182, 3, v192
	v_add_u32_e32 v67, v52, v182
	s_load_dwordx4 s[8:11], s[10:11], 0x0
	s_mov_b64 s[0:1], 0x4e
	v_lshl_add_u64 v[26:27], v[58:59], 0, s[0:1]
	s_mov_b64 s[0:1], 0x9c
	v_lshl_add_u32 v185, v26, 4, v182
	v_lshl_add_u32 v193, v58, 4, v182
	v_cmp_gt_u16_e32 vcc, 26, v58
	s_waitcnt vmcnt(17)
	v_mul_f32_e32 v0, v3, v81
	v_mul_f32_e32 v1, v2, v81
	v_fmac_f32_e32 v0, v2, v80
	v_fma_f32 v1, v3, v80, -v1
	s_waitcnt vmcnt(15)
	v_mul_f32_e32 v2, v7, v79
	v_mul_f32_e32 v3, v6, v79
	v_fmac_f32_e32 v2, v6, v78
	v_fma_f32 v3, v7, v78, -v3
	ds_write_b64 v67, v[2:3] offset:3120
	s_waitcnt vmcnt(13)
	v_mul_f32_e32 v2, v13, v77
	v_mul_f32_e32 v3, v12, v77
	v_fmac_f32_e32 v2, v12, v76
	v_fma_f32 v3, v13, v76, -v3
	ds_write2_b64 v67, v[0:1], v[2:3] offset1:78
	s_waitcnt vmcnt(12)
	v_mul_f32_e32 v0, v15, v75
	v_mul_f32_e32 v1, v14, v75
	v_fmac_f32_e32 v0, v14, v74
	v_fma_f32 v1, v15, v74, -v1
	v_add_u32_e32 v6, 0xc00, v67
	s_waitcnt vmcnt(8)
	v_mul_f32_e32 v4, v9, v73
	v_mul_f32_e32 v5, v8, v73
	v_fmac_f32_e32 v4, v8, v72
	v_fma_f32 v5, v9, v72, -v5
	v_mul_f32_e32 v2, v17, v69
	v_mul_f32_e32 v3, v16, v69
	ds_write2_b64 v6, v[0:1], v[4:5] offset0:84 offset1:162
	s_waitcnt vmcnt(6)
	v_mul_f32_e32 v0, v11, v71
	v_mul_f32_e32 v1, v10, v71
	v_fmac_f32_e32 v2, v16, v68
	v_fma_f32 v3, v17, v68, -v3
	v_fmac_f32_e32 v0, v10, v70
	v_fma_f32 v1, v11, v70, -v1
	ds_write2_b64 v67, v[2:3], v[0:1] offset0:156 offset1:234
	s_waitcnt vmcnt(2)
	v_mul_f32_e32 v2, v21, v63
	v_mul_f32_e32 v3, v20, v63
	v_fmac_f32_e32 v2, v20, v62
	v_fma_f32 v3, v21, v62, -v3
	v_mul_f32_e32 v0, v19, v65
	v_mul_f32_e32 v1, v18, v65
	ds_write_b64 v67, v[2:3] offset:2496
	s_waitcnt vmcnt(0)
	v_mul_f32_e32 v2, v23, v61
	v_mul_f32_e32 v3, v22, v61
	v_fmac_f32_e32 v0, v18, v64
	v_fma_f32 v1, v19, v64, -v1
	v_fmac_f32_e32 v2, v22, v60
	v_fma_f32 v3, v23, v60, -v3
	v_add_u32_e32 v20, 0x1000, v67
	ds_write2_b64 v20, v[0:1], v[2:3] offset0:112 offset1:190
	s_waitcnt lgkmcnt(0)
	s_barrier
	ds_read2_b64 v[0:3], v67 offset1:78
	ds_read2_b64 v[4:7], v6 offset0:84 offset1:162
	v_add_u32_e32 v21, 0x800, v67
	ds_read2_b64 v[8:11], v67 offset0:156 offset1:234
	ds_read2_b64 v[12:15], v21 offset0:56 offset1:134
	;; [unrolled: 1-line block ×3, first 2 shown]
	v_lshl_add_u64 v[22:23], v[58:59], 0, s[0:1]
	s_mov_b64 s[0:1], 0xea
	s_waitcnt lgkmcnt(3)
	v_pk_add_f32 v[30:31], v[2:3], v[4:5] neg_lo:[0,1] neg_hi:[0,1]
	s_waitcnt lgkmcnt(2)
	v_pk_add_f32 v[34:35], v[8:9], v[6:7] neg_lo:[0,1] neg_hi:[0,1]
	v_pk_fma_f32 v[28:29], v[2:3], 2.0, v[30:31] op_sel_hi:[1,0,1] neg_lo:[0,0,1] neg_hi:[0,0,1]
	s_waitcnt lgkmcnt(1)
	v_pk_add_f32 v[2:3], v[0:1], v[14:15] neg_lo:[0,1] neg_hi:[0,1]
	v_lshlrev_b16_e32 v4, 1, v58
	v_pk_fma_f32 v[32:33], v[8:9], 2.0, v[34:35] op_sel_hi:[1,0,1] neg_lo:[0,0,1] neg_hi:[0,0,1]
	s_waitcnt lgkmcnt(0)
	v_pk_add_f32 v[8:9], v[10:11], v[16:17] neg_lo:[0,1] neg_hi:[0,1]
	v_pk_fma_f32 v[0:1], v[0:1], 2.0, v[2:3] op_sel_hi:[1,0,1] neg_lo:[0,0,1] neg_hi:[0,0,1]
	v_lshl_add_u32 v53, v4, 3, v182
	v_pk_add_f32 v[4:5], v[12:13], v[18:19] neg_lo:[0,1] neg_hi:[0,1]
	v_pk_fma_f32 v[6:7], v[10:11], 2.0, v[8:9] op_sel_hi:[1,0,1] neg_lo:[0,0,1] neg_hi:[0,0,1]
	s_barrier
	ds_write_b128 v53, v[0:3]
	v_lshl_add_u64 v[24:25], v[58:59], 0, s[0:1]
	v_lshl_add_u32 v183, v22, 4, v182
	v_pk_fma_f32 v[2:3], v[12:13], 2.0, v[4:5] op_sel_hi:[1,0,1] neg_lo:[0,0,1] neg_hi:[0,0,1]
	v_add_u32_e32 v0, 0x400, v67
	ds_write_b128 v185, v[28:31]
	v_lshl_add_u32 v184, v24, 4, v182
	ds_write_b128 v183, v[32:35]
	ds_write_b128 v184, v[6:9]
	ds_write_b128 v193, v[2:5] offset:4992
	s_waitcnt lgkmcnt(0)
	s_barrier
	ds_read2_b64 v[6:9], v0 offset0:28 offset1:132
	ds_read2_b64 v[14:17], v20 offset0:8 offset1:86
	ds_read_b64 v[30:31], v67 offset:5408
	ds_read2_b64 v[18:21], v21 offset0:82 offset1:160
	ds_read2_b64 v[10:13], v67 offset1:78
                                        ; implicit-def: $vgpr32
                                        ; implicit-def: $vgpr28
                                        ; implicit-def: $vgpr29
	s_and_saveexec_b64 s[0:1], vcc
	s_cbranch_execz .LBB0_3
; %bb.2:
	ds_read_b64 v[28:29], v67 offset:6032
	ds_read_b64 v[4:5], v67 offset:1872
	;; [unrolled: 1-line block ×3, first 2 shown]
.LBB0_3:
	s_or_b64 exec, exec, s[0:1]
	v_and_b32_e32 v59, 1, v58
	v_lshlrev_b32_e32 v0, 4, v59
	global_load_dwordx4 v[0:3], v0, s[6:7]
	s_waitcnt lgkmcnt(1)
	v_mov_b32_e32 v42, v21
	s_waitcnt lgkmcnt(0)
	v_mov_b32_e32 v43, v32
	v_mov_b32_e32 v44, v31
	;; [unrolled: 1-line block ×7, first 2 shown]
	v_mov_b32_e32 v34, 0.5
	v_mov_b32_e32 v36, v6
	v_mov_b32_e32 v38, 0x3f5db3d7
	;; [unrolled: 1-line block ×3, first 2 shown]
	s_mov_b32 s0, 0x3f5db3d7
	s_barrier
	v_lshrrev_b32_e32 v191, 1, v24
	s_waitcnt vmcnt(0)
	v_mul_f32_e32 v21, v21, v1
	v_mov_b32_e32 v48, v3
	v_mul_f32_e32 v23, v31, v3
	v_pk_mul_f32 v[42:43], v[42:43], v[0:1]
	v_pk_mul_f32 v[44:45], v[44:45], v[2:3]
	v_pk_mul_f32 v[50:51], v[16:17], v[2:3] op_sel_hi:[1,0]
	v_pk_mul_f32 v[54:55], v[18:19], v[0:1] op_sel_hi:[1,0]
	v_pk_mul_f32 v[56:57], v[28:29], v[2:3]
	v_pk_mul_f32 v[32:33], v[32:33], v[0:1]
	v_pk_mul_f32 v[82:83], v[8:9], v[0:1] op_sel:[0,1]
	v_pk_mul_f32 v[84:85], v[14:15], v[48:49] op_sel_hi:[1,0]
	v_fma_f32 v20, v20, v0, -v21
	v_fma_f32 v30, v30, v2, -v23
	v_pk_fma_f32 v[40:41], v[40:41], v[0:1], v[42:43] op_sel:[0,0,1] op_sel_hi:[1,1,0]
	v_pk_fma_f32 v[44:45], v[46:47], v[2:3], v[44:45] op_sel:[0,0,1] op_sel_hi:[1,1,0]
	v_mov_b32_e32 v35, v3
	v_pk_fma_f32 v[86:87], v[16:17], v[2:3], v[50:51] op_sel:[0,0,1] op_sel_hi:[1,1,0] neg_lo:[1,0,0] neg_hi:[1,0,0]
	v_pk_fma_f32 v[16:17], v[16:17], v[48:49], v[50:51] op_sel:[0,0,1] op_sel_hi:[1,0,0]
	v_pk_fma_f32 v[48:49], v[18:19], v[0:1], v[54:55] op_sel:[0,0,1] op_sel_hi:[1,1,0] neg_lo:[1,0,0] neg_hi:[1,0,0]
	v_pk_fma_f32 v[18:19], v[18:19], v[0:1], v[54:55] op_sel:[0,1,1] op_sel_hi:[1,1,0]
	v_mov_b32_e32 v37, v56
	v_pk_fma_f32 v[42:43], v[8:9], v[0:1], v[82:83] op_sel:[0,0,1] op_sel_hi:[1,1,0] neg_lo:[0,0,1] neg_hi:[0,0,1]
	v_pk_fma_f32 v[8:9], v[8:9], v[0:1], v[82:83] op_sel:[0,0,1] op_sel_hi:[1,0,0]
	v_mov_b32_e32 v47, v32
	v_pk_fma_f32 v[50:51], v[14:15], v[2:3], v[84:85] op_sel:[0,0,1] op_sel_hi:[1,1,0] neg_lo:[0,0,1] neg_hi:[0,0,1]
	v_pk_fma_f32 v[14:15], v[14:15], v[2:3], v[84:85] op_sel:[0,0,1] op_sel_hi:[1,0,0]
	v_add_f32_e32 v28, v20, v30
	v_mov_b32_e32 v46, v41
	v_mov_b32_e32 v32, v45
	;; [unrolled: 1-line block ×9, first 2 shown]
	v_pk_fma_f32 v[86:87], v[28:29], v[34:35], v[36:37] neg_lo:[1,0,0] neg_hi:[1,0,0]
	v_mov_b32_e32 v51, v15
	v_pk_add_f32 v[28:29], v[46:47], v[32:33] neg_lo:[0,1] neg_hi:[0,1]
	v_pk_add_f32 v[14:15], v[10:11], v[42:43]
	v_pk_add_f32 v[16:17], v[18:19], v[16:17] neg_lo:[0,1] neg_hi:[0,1]
	v_pk_add_f32 v[18:19], v[8:9], v[48:49]
	v_pk_add_f32 v[8:9], v[12:13], v[8:9]
	v_pk_mul_f32 v[46:47], v[38:39], v[28:29]
	v_pk_add_f32 v[32:33], v[38:39], v[28:29]
	v_pk_add_f32 v[38:39], v[42:43], v[50:51]
	v_pk_add_f32 v[42:43], v[42:43], v[50:51] neg_lo:[0,1] neg_hi:[0,1]
	v_mov_b32_e32 v83, v20
	v_mov_b32_e32 v85, v30
	v_sub_f32_e32 v23, v40, v44
	v_mov_b32_e32 v82, v29
	v_add_f32_e32 v25, v29, v87
	v_pk_fma_f32 v[12:13], v[18:19], 0.5, v[12:13] op_sel_hi:[1,0,1] neg_lo:[1,0,0] neg_hi:[1,0,0]
	v_pk_add_f32 v[34:35], v[8:9], v[48:49]
	v_mov_b32_e32 v84, v87
	v_pk_fma_f32 v[8:9], v[38:39], 0.5, v[10:11] op_sel_hi:[1,0,1] neg_lo:[1,0,0] neg_hi:[1,0,0]
	v_pk_mul_f32 v[10:11], v[42:43], s[0:1] op_sel_hi:[1,0]
	v_mov_b32_e32 v21, v41
	v_pk_add_f32 v[28:29], v[14:15], v[50:51]
	v_pk_fma_f32 v[42:43], v[16:17], s[0:1], v[12:13] op_sel_hi:[1,0,1] neg_lo:[1,0,0] neg_hi:[1,0,0]
	v_pk_fma_f32 v[56:57], v[16:17], s[0:1], v[12:13] op_sel_hi:[1,0,1]
	v_pk_add_f32 v[12:13], v[82:83], v[84:85] neg_lo:[0,1] neg_hi:[0,1]
	v_mov_b32_e32 v47, v33
	v_mul_f32_e32 v14, 0.5, v25
	v_pk_add_f32 v[32:33], v[8:9], v[10:11] op_sel:[0,1] op_sel_hi:[1,0] neg_lo:[0,1] neg_hi:[0,1]
	v_pk_add_f32 v[82:83], v[10:11], v[8:9] op_sel:[1,0] op_sel_hi:[0,1]
	v_mul_f32_e32 v8, 0x3f5db3d7, v23
	v_mov_b32_e32 v9, v40
	v_pk_add_f32 v[20:21], v[6:7], v[20:21]
	v_mov_b32_e32 v6, v5
	v_pk_add_f32 v[10:11], v[4:5], v[8:9]
	v_pk_add_f32 v[4:5], v[4:5], v[14:15] neg_lo:[0,1] neg_hi:[0,1]
	v_pk_add_f32 v[54:55], v[40:41], v[44:45]
	v_mov_b32_e32 v5, v11
	v_mov_b32_e32 v10, v4
	;; [unrolled: 1-line block ×4, first 2 shown]
	v_pk_fma_f32 v[6:7], v[54:55], 0.5, v[6:7] op_sel_hi:[1,0,1] neg_lo:[1,0,0] neg_hi:[1,0,0]
	v_pk_add_f32 v[54:55], v[46:47], v[86:87]
	v_pk_add_f32 v[46:47], v[10:11], v[8:9] neg_lo:[0,1] neg_hi:[0,1]
	v_mov_b32_e32 v9, v44
	v_pk_add_f32 v[50:51], v[4:5], v[8:9]
	v_lshrrev_b32_e32 v4, 1, v58
	v_mul_u32_u24_e32 v4, 6, v4
	v_or_b32_e32 v4, v4, v59
	v_lshl_add_u32 v188, v4, 3, v182
	v_mov_b32_e32 v4, v82
	v_mov_b32_e32 v5, v33
	ds_write2_b64 v188, v[28:29], v[4:5] offset1:2
	v_mov_b32_e32 v4, v32
	v_mov_b32_e32 v5, v83
	ds_write_b64 v188, v[4:5] offset:32
	v_lshrrev_b32_e32 v4, 1, v26
	v_mul_u32_u24_e32 v4, 6, v4
	v_or_b32_e32 v4, v4, v59
	v_lshl_add_u32 v189, v4, 3, v182
	v_mov_b32_e32 v4, v56
	v_mov_b32_e32 v5, v43
	ds_write2_b64 v189, v[34:35], v[4:5] offset1:2
	v_mov_b32_e32 v4, v42
	v_mov_b32_e32 v5, v57
	ds_write_b64 v189, v[4:5] offset:32
	v_lshrrev_b32_e32 v4, 1, v22
	v_mul_u32_u24_e32 v4, 6, v4
	v_mov_b32_e32 v31, v45
	v_pk_fma_f32 v[38:39], v[12:13], s[0:1], v[6:7] op_sel_hi:[1,0,1] neg_lo:[1,0,0] neg_hi:[1,0,0]
	v_or_b32_e32 v4, v4, v59
	v_pk_add_f32 v[36:37], v[20:21], v[30:31]
	v_pk_fma_f32 v[84:85], v[12:13], s[0:1], v[6:7] op_sel_hi:[1,0,1]
	v_lshl_add_u32 v190, v4, 3, v182
	v_mov_b32_e32 v4, v54
	v_mov_b32_e32 v5, v39
	ds_write2_b64 v190, v[36:37], v[4:5] offset1:2
	v_mov_b32_e32 v4, v47
	v_mov_b32_e32 v5, v85
	ds_write_b64 v190, v[4:5] offset:32
	s_and_saveexec_b64 s[0:1], vcc
	s_cbranch_execz .LBB0_5
; %bb.4:
	v_mul_u32_u24_e32 v4, 6, v191
	v_or_b32_e32 v4, v4, v59
	v_lshl_add_u32 v8, v4, 3, v182
	v_mov_b32_e32 v4, v55
	v_mov_b32_e32 v5, v51
	;; [unrolled: 1-line block ×4, first 2 shown]
	ds_write2_b64 v8, v[4:5], v[6:7] offset1:2
	v_mov_b32_e32 v4, v46
	v_mov_b32_e32 v5, v84
	ds_write_b64 v8, v[4:5] offset:32
.LBB0_5:
	s_or_b64 exec, exec, s[0:1]
	v_cmp_gt_u16_e64 s[0:1], 60, v58
	v_cmp_lt_u16_e64 s[2:3], 59, v58
	s_waitcnt lgkmcnt(0)
	s_barrier
	s_and_saveexec_b64 s[14:15], s[2:3]
	s_xor_b64 s[14:15], exec, s[14:15]
	s_or_saveexec_b64 s[14:15], s[14:15]
                                        ; implicit-def: $vgpr86
                                        ; implicit-def: $vgpr30
	s_xor_b64 exec, exec, s[14:15]
	s_cbranch_execz .LBB0_7
; %bb.6:
	v_add_u32_e32 v5, 0x800, v67
	ds_read2_b64 v[28:31], v67 offset1:60
	ds_read2_b64 v[32:35], v67 offset0:120 offset1:180
	ds_read2_b64 v[36:39], v5 offset0:104 offset1:164
	v_add_u32_e32 v5, 0xc00, v67
	ds_read2_b64 v[48:51], v5 offset0:96 offset1:156
	v_add_u32_e32 v5, 0x1000, v67
	v_add_u32_e32 v4, 0x400, v67
	ds_read2_b64 v[44:47], v5 offset0:88 offset1:148
	ds_read2_b64 v[40:43], v4 offset0:112 offset1:172
	ds_read_b64 v[86:87], v67 offset:5760
	s_waitcnt lgkmcnt(4)
	v_mov_b32_e32 v54, v38
	s_waitcnt lgkmcnt(3)
	v_mov_b32_e32 v55, v50
	;; [unrolled: 2-line block ×3, first 2 shown]
	v_mov_b32_e32 v84, v47
	v_mov_b32_e32 v85, v49
	s_waitcnt lgkmcnt(1)
	v_mov_b32_e32 v56, v40
	v_mov_b32_e32 v57, v43
	;; [unrolled: 1-line block ×8, first 2 shown]
	s_waitcnt lgkmcnt(0)
	v_mov_b32_e32 v30, v87
.LBB0_7:
	s_or_b64 exec, exec, s[14:15]
	s_movk_i32 s14, 0xab
	v_mul_lo_u16_sdwa v4, v58, s14 dst_sel:DWORD dst_unused:UNUSED_PAD src0_sel:BYTE_0 src1_sel:DWORD
	v_lshrrev_b16_e32 v186, 10, v4
	v_mul_lo_u16_e32 v4, 6, v186
	v_sub_u16_e32 v4, v58, v4
	v_and_b32_e32 v187, 0xff, v4
	s_movk_i32 s14, 0x60
	v_mov_b64_e32 v[4:5], s[6:7]
	v_mad_u64_u32 v[40:41], s[14:15], v187, s14, v[4:5]
	global_load_dwordx4 v[8:11], v[40:41], off offset:32
	global_load_dwordx4 v[4:7], v[40:41], off offset:48
	;; [unrolled: 1-line block ×6, first 2 shown]
	s_mov_b32 s24, 0xbeedf032
	s_mov_b32 s14, 0x3f62ad3f
	;; [unrolled: 1-line block ×15, first 2 shown]
	s_barrier
	s_waitcnt vmcnt(5)
	v_pk_mul_f32 v[40:41], v[32:33], v[8:9] op_sel:[1,0]
	v_pk_mul_f32 v[48:49], v[82:83], v[10:11] op_sel:[1,0]
	s_waitcnt vmcnt(4)
	v_pk_mul_f32 v[88:89], v[34:35], v[4:5] op_sel:[1,0]
	v_pk_mul_f32 v[90:91], v[42:43], v[6:7] op_sel:[1,0]
	;; [unrolled: 3-line block ×4, first 2 shown]
	s_waitcnt vmcnt(1)
	v_pk_mul_f32 v[100:101], v[50:51], v[20:21] op_sel:[1,0]
	v_pk_mul_f32 v[38:39], v[38:39], v[22:23] op_sel_hi:[0,1]
	s_waitcnt vmcnt(0)
	v_pk_mul_f32 v[102:103], v[84:85], v[24:25] op_sel_hi:[0,1]
	v_pk_mul_f32 v[30:31], v[30:31], v[26:27] op_sel_hi:[0,1]
	v_pk_fma_f32 v[84:85], v[82:83], v[8:9], v[40:41] op_sel:[0,0,1] op_sel_hi:[1,1,0] neg_lo:[0,0,1] neg_hi:[0,0,1]
	v_pk_fma_f32 v[40:41], v[82:83], v[8:9], v[40:41] op_sel:[0,0,1] op_sel_hi:[0,1,0]
	v_pk_fma_f32 v[44:45], v[32:33], v[10:11], v[48:49] op_sel:[0,0,1] op_sel_hi:[1,1,0] neg_lo:[0,0,1] neg_hi:[0,0,1]
	v_pk_fma_f32 v[32:33], v[32:33], v[10:11], v[48:49] op_sel:[0,0,1] op_sel_hi:[0,1,0]
	;; [unrolled: 2-line block ×12, first 2 shown]
	v_mov_b32_e32 v85, v41
	v_mov_b32_e32 v47, v31
	;; [unrolled: 1-line block ×4, first 2 shown]
	v_pk_add_f32 v[114:115], v[84:85], v[46:47] neg_lo:[0,1] neg_hi:[0,1]
	v_mov_b32_e32 v43, v37
	v_mov_b32_e32 v55, v39
	v_pk_add_f32 v[36:37], v[84:85], v[46:47]
	v_pk_add_f32 v[116:117], v[44:45], v[50:51] neg_lo:[0,1] neg_hi:[0,1]
	v_pk_mul_f32 v[38:39], v[114:115], s[24:25] op_sel:[1,0] op_sel_hi:[0,0]
	v_mov_b32_e32 v49, v35
	v_pk_add_f32 v[34:35], v[44:45], v[50:51]
	v_pk_mul_f32 v[40:41], v[116:117], s[22:23] op_sel:[1,0] op_sel_hi:[0,0]
	v_pk_fma_f32 v[106:107], v[36:37], s[14:15], v[38:39] op_sel_hi:[1,0,1]
	v_pk_fma_f32 v[108:109], v[36:37], s[14:15], v[38:39] op_sel_hi:[1,0,1] neg_lo:[0,0,1] neg_hi:[0,0,1]
	v_mov_b32_e32 v83, v105
	v_mov_b32_e32 v99, v101
	v_pk_add_f32 v[118:119], v[48:49], v[54:55] neg_lo:[0,1] neg_hi:[0,1]
	v_pk_fma_f32 v[102:103], v[34:35], s[18:19], v[40:41] op_sel_hi:[1,0,1]
	v_pk_fma_f32 v[104:105], v[34:35], s[18:19], v[40:41] op_sel_hi:[1,0,1] neg_lo:[0,0,1] neg_hi:[0,0,1]
	v_mov_b32_e32 v38, v106
	v_mov_b32_e32 v39, v109
	;; [unrolled: 1-line block ×3, first 2 shown]
	v_pk_add_f32 v[32:33], v[48:49], v[54:55]
	v_pk_add_f32 v[120:121], v[82:83], v[98:99] neg_lo:[0,1] neg_hi:[0,1]
	v_pk_mul_f32 v[92:93], v[118:119], s[26:27] op_sel:[1,0] op_sel_hi:[0,0]
	v_mov_b32_e32 v40, v102
	v_mov_b32_e32 v41, v105
	v_pk_add_f32 v[38:39], v[28:29], v[38:39]
	s_mov_b32 s24, 0xbf6f5d39
	v_pk_add_f32 v[30:31], v[82:83], v[98:99]
	v_pk_fma_f32 v[86:87], v[32:33], s[16:17], v[92:93] op_sel_hi:[1,0,1]
	v_pk_fma_f32 v[100:101], v[32:33], s[16:17], v[92:93] op_sel_hi:[1,0,1] neg_lo:[0,0,1] neg_hi:[0,0,1]
	v_pk_add_f32 v[38:39], v[40:41], v[38:39]
	v_pk_mul_f32 v[40:41], v[120:121], s[24:25] op_sel:[1,0] op_sel_hi:[0,0]
	v_mov_b32_e32 v91, v97
	v_mov_b32_e32 v92, v86
	;; [unrolled: 1-line block ×3, first 2 shown]
	v_pk_fma_f32 v[110:111], v[30:31], s[20:21], v[40:41] op_sel_hi:[1,0,1]
	v_pk_fma_f32 v[112:113], v[30:31], s[20:21], v[40:41] op_sel_hi:[1,0,1] neg_lo:[0,0,1] neg_hi:[0,0,1]
	v_pk_add_f32 v[38:39], v[92:93], v[38:39]
	v_mov_b32_e32 v40, v110
	v_mov_b32_e32 v41, v113
	v_pk_add_f32 v[146:147], v[56:57], v[90:91] neg_lo:[0,1] neg_hi:[0,1]
	v_pk_add_f32 v[40:41], v[40:41], v[38:39]
	v_pk_add_f32 v[38:39], v[56:57], v[90:91]
	v_pk_mul_f32 v[92:93], v[146:147], s[30:31] op_sel:[1,0] op_sel_hi:[0,0]
	v_mov_b32_e32 v89, v95
	v_pk_fma_f32 v[122:123], v[38:39], s[28:29], v[92:93] op_sel_hi:[1,0,1]
	v_pk_fma_f32 v[124:125], v[38:39], s[28:29], v[92:93] op_sel_hi:[1,0,1] neg_lo:[0,0,1] neg_hi:[0,0,1]
	v_mov_b32_e32 v92, v122
	v_mov_b32_e32 v93, v125
	v_pk_add_f32 v[162:163], v[42:43], v[88:89] neg_lo:[0,1] neg_hi:[0,1]
	v_pk_add_f32 v[92:93], v[92:93], v[40:41]
	v_pk_add_f32 v[40:41], v[42:43], v[88:89]
	v_pk_mul_f32 v[94:95], v[162:163], s[38:39] op_sel:[1,0] op_sel_hi:[0,0]
	v_pk_fma_f32 v[126:127], v[40:41], s[34:35], v[94:95] op_sel_hi:[1,0,1]
	v_pk_fma_f32 v[128:129], v[40:41], s[34:35], v[94:95] op_sel_hi:[1,0,1] neg_lo:[0,0,1] neg_hi:[0,0,1]
	v_mov_b32_e32 v94, v126
	v_mov_b32_e32 v95, v129
	v_pk_add_f32 v[92:93], v[94:95], v[92:93]
	v_pk_mul_f32 v[94:95], v[114:115], s[22:23] op_sel:[1,0] op_sel_hi:[0,0]
	v_pk_fma_f32 v[130:131], v[36:37], s[18:19], v[94:95] op_sel_hi:[1,0,1]
	v_pk_fma_f32 v[132:133], v[36:37], s[18:19], v[94:95] op_sel_hi:[1,0,1] neg_lo:[0,0,1] neg_hi:[0,0,1]
	v_pk_mul_f32 v[96:97], v[116:117], s[24:25] op_sel:[1,0] op_sel_hi:[0,0]
	v_mov_b32_e32 v94, v130
	v_mov_b32_e32 v95, v133
	v_pk_fma_f32 v[134:135], v[34:35], s[20:21], v[96:97] op_sel_hi:[1,0,1]
	v_pk_fma_f32 v[136:137], v[34:35], s[20:21], v[96:97] op_sel_hi:[1,0,1] neg_lo:[0,0,1] neg_hi:[0,0,1]
	v_pk_add_f32 v[94:95], v[28:29], v[94:95]
	v_mov_b32_e32 v96, v134
	v_mov_b32_e32 v97, v137
	v_pk_add_f32 v[94:95], v[96:97], v[94:95]
	v_pk_mul_f32 v[96:97], v[118:119], s[38:39] op_sel:[1,0] op_sel_hi:[0,0]
	v_pk_fma_f32 v[138:139], v[32:33], s[34:35], v[96:97] op_sel_hi:[1,0,1]
	v_pk_fma_f32 v[140:141], v[32:33], s[34:35], v[96:97] op_sel_hi:[1,0,1] neg_lo:[0,0,1] neg_hi:[0,0,1]
	v_mov_b32_e32 v96, v138
	v_mov_b32_e32 v97, v141
	v_pk_add_f32 v[94:95], v[96:97], v[94:95]
	v_pk_mul_f32 v[96:97], v[120:121], s[44:45] op_sel:[1,0] op_sel_hi:[0,0]
	v_pk_fma_f32 v[142:143], v[30:31], s[28:29], v[96:97] op_sel_hi:[1,0,1]
	v_pk_fma_f32 v[144:145], v[30:31], s[28:29], v[96:97] op_sel_hi:[1,0,1] neg_lo:[0,0,1] neg_hi:[0,0,1]
	;; [unrolled: 6-line block ×5, first 2 shown]
	v_pk_mul_f32 v[164:165], v[116:117], s[38:39] op_sel:[1,0] op_sel_hi:[0,0]
	v_mov_b32_e32 v96, v156
	v_mov_b32_e32 v97, v159
	v_pk_fma_f32 v[160:161], v[34:35], s[34:35], v[164:165] op_sel_hi:[1,0,1]
	v_pk_fma_f32 v[164:165], v[34:35], s[34:35], v[164:165] op_sel_hi:[1,0,1] neg_lo:[0,0,1] neg_hi:[0,0,1]
	v_pk_add_f32 v[96:97], v[28:29], v[96:97]
	v_mov_b32_e32 v166, v160
	v_mov_b32_e32 v167, v165
	v_pk_mul_f32 v[168:169], v[118:119], s[36:37] op_sel:[1,0] op_sel_hi:[0,0]
	v_pk_add_f32 v[96:97], v[166:167], v[96:97]
	v_pk_fma_f32 v[166:167], v[32:33], s[20:21], v[168:169] op_sel_hi:[1,0,1]
	v_pk_fma_f32 v[168:169], v[32:33], s[20:21], v[168:169] op_sel_hi:[1,0,1] neg_lo:[0,0,1] neg_hi:[0,0,1]
	v_mov_b32_e32 v170, v166
	v_mov_b32_e32 v171, v169
	v_pk_mul_f32 v[172:173], v[120:121], s[42:43] op_sel:[1,0] op_sel_hi:[0,0]
	v_pk_add_f32 v[96:97], v[170:171], v[96:97]
	v_pk_fma_f32 v[170:171], v[30:31], s[14:15], v[172:173] op_sel_hi:[1,0,1]
	v_pk_fma_f32 v[172:173], v[30:31], s[14:15], v[172:173] op_sel_hi:[1,0,1] neg_lo:[0,0,1] neg_hi:[0,0,1]
	;; [unrolled: 6-line block ×4, first 2 shown]
	v_mov_b32_e32 v194, v178
	v_mov_b32_e32 v195, v181
	v_pk_add_f32 v[96:97], v[194:195], v[96:97]
	v_add_u32_e32 v106, 0x1380, v193
	s_and_saveexec_b64 s[36:37], s[0:1]
	s_cbranch_execz .LBB0_9
; %bb.8:
	v_pk_add_f32 v[84:85], v[28:29], v[84:85]
	v_mov_b32_e32 v109, v107
	v_pk_add_f32 v[44:45], v[84:85], v[44:45]
	v_mov_b32_e32 v105, v103
	;; [unrolled: 2-line block ×4, first 2 shown]
	v_pk_add_f32 v[44:45], v[44:45], v[56:57]
	v_mul_u32_u24_e32 v86, 0x4e, v186
	v_pk_add_f32 v[42:43], v[44:45], v[42:43]
	v_pk_add_f32 v[44:45], v[28:29], v[108:109]
	;; [unrolled: 1-line block ×9, first 2 shown]
	v_mov_b32_e32 v125, v123
	v_add_u32_e32 v86, v86, v187
	v_pk_add_f32 v[42:43], v[42:43], v[50:51]
	v_pk_add_f32 v[44:45], v[124:125], v[44:45]
	v_mov_b32_e32 v129, v127
	v_lshl_add_u32 v142, v86, 3, v182
	v_pk_add_f32 v[42:43], v[42:43], v[46:47]
	v_pk_add_f32 v[44:45], v[128:129], v[44:45]
	v_mov_b32_e32 v133, v131
	v_mov_b32_e32 v159, v157
	ds_write2_b64 v142, v[42:43], v[44:45] offset1:6
	v_pk_add_f32 v[42:43], v[28:29], v[132:133]
	v_mov_b32_e32 v137, v135
	v_pk_add_f32 v[44:45], v[28:29], v[158:159]
	v_mov_b32_e32 v165, v161
	;; [unrolled: 2-line block ×10, first 2 shown]
	v_mov_b32_e32 v194, v115
	v_mov_b32_e32 v195, v114
	v_pk_add_f32 v[42:43], v[154:155], v[42:43]
	v_pk_add_f32 v[44:45], v[180:181], v[44:45]
	v_mov_b32_e32 v114, v117
	v_mov_b32_e32 v115, v116
	ds_write2_b64 v142, v[42:43], v[44:45] offset0:12 offset1:18
	v_pk_mul_f32 v[42:43], v[194:195], s[24:25] op_sel_hi:[1,0]
	v_pk_mul_f32 v[48:49], v[114:115], s[44:45] op_sel_hi:[1,0]
	v_pk_fma_f32 v[44:45], v[36:37], s[20:21], v[42:43] op_sel_hi:[1,0,1] neg_lo:[0,0,1] neg_hi:[0,0,1]
	v_pk_fma_f32 v[42:43], v[36:37], s[20:21], v[42:43] op_sel_hi:[1,0,1]
	v_mov_b32_e32 v46, v44
	v_mov_b32_e32 v47, v43
	v_pk_fma_f32 v[50:51], v[34:35], s[28:29], v[48:49] op_sel_hi:[1,0,1] neg_lo:[0,0,1] neg_hi:[0,0,1]
	v_pk_fma_f32 v[48:49], v[34:35], s[28:29], v[48:49] op_sel_hi:[1,0,1]
	v_mov_b32_e32 v116, v119
	v_mov_b32_e32 v117, v118
	v_pk_add_f32 v[46:47], v[28:29], v[46:47]
	v_mov_b32_e32 v54, v50
	v_mov_b32_e32 v55, v49
	v_pk_add_f32 v[46:47], v[54:55], v[46:47]
	v_pk_mul_f32 v[54:55], v[116:117], s[42:43] op_sel_hi:[1,0]
	v_mov_b32_e32 v118, v121
	v_pk_fma_f32 v[56:57], v[32:33], s[14:15], v[54:55] op_sel_hi:[1,0,1] neg_lo:[0,0,1] neg_hi:[0,0,1]
	v_pk_fma_f32 v[54:55], v[32:33], s[14:15], v[54:55] op_sel_hi:[1,0,1]
	v_mov_b32_e32 v119, v120
	v_mov_b32_e32 v82, v56
	;; [unrolled: 1-line block ×3, first 2 shown]
	v_pk_add_f32 v[46:47], v[82:83], v[46:47]
	v_pk_mul_f32 v[82:83], v[118:119], s[26:27] op_sel_hi:[1,0]
	v_mov_b32_e32 v120, v147
	v_pk_fma_f32 v[84:85], v[30:31], s[16:17], v[82:83] op_sel_hi:[1,0,1] neg_lo:[0,0,1] neg_hi:[0,0,1]
	v_pk_fma_f32 v[82:83], v[30:31], s[16:17], v[82:83] op_sel_hi:[1,0,1]
	v_mov_b32_e32 v121, v146
	v_mov_b32_e32 v86, v84
	;; [unrolled: 1-line block ×3, first 2 shown]
	s_mov_b32 s26, 0x3e750f2a
	v_pk_add_f32 v[46:47], v[86:87], v[46:47]
	v_pk_mul_f32 v[86:87], v[120:121], s[26:27] op_sel_hi:[1,0]
	v_mov_b32_e32 v146, v163
	v_pk_fma_f32 v[88:89], v[38:39], s[34:35], v[86:87] op_sel_hi:[1,0,1] neg_lo:[0,0,1] neg_hi:[0,0,1]
	v_pk_fma_f32 v[86:87], v[38:39], s[34:35], v[86:87] op_sel_hi:[1,0,1]
	v_mov_b32_e32 v147, v162
	v_mov_b32_e32 v90, v88
	;; [unrolled: 1-line block ×3, first 2 shown]
	s_mov_b32 s44, 0x3f52af12
	v_pk_add_f32 v[46:47], v[90:91], v[46:47]
	v_pk_mul_f32 v[90:91], v[146:147], s[44:45] op_sel_hi:[1,0]
	v_pk_mul_f32 v[102:103], v[114:115], s[40:41] op_sel_hi:[1,0]
	v_pk_fma_f32 v[98:99], v[40:41], s[18:19], v[90:91] op_sel_hi:[1,0,1] neg_lo:[0,0,1] neg_hi:[0,0,1]
	v_pk_fma_f32 v[90:91], v[40:41], s[18:19], v[90:91] op_sel_hi:[1,0,1]
	v_mov_b32_e32 v100, v98
	v_mov_b32_e32 v101, v91
	v_pk_add_f32 v[46:47], v[100:101], v[46:47]
	v_pk_mul_f32 v[100:101], v[194:195], s[30:31] op_sel_hi:[1,0]
	v_pk_fma_f32 v[126:127], v[34:35], s[16:17], v[102:103] op_sel_hi:[1,0,1] neg_lo:[0,0,1] neg_hi:[0,0,1]
	v_pk_fma_f32 v[122:123], v[36:37], s[28:29], v[100:101] op_sel_hi:[1,0,1] neg_lo:[0,0,1] neg_hi:[0,0,1]
	v_pk_fma_f32 v[100:101], v[36:37], s[28:29], v[100:101] op_sel_hi:[1,0,1]
	v_mov_b32_e32 v124, v122
	v_mov_b32_e32 v125, v101
	v_pk_fma_f32 v[102:103], v[34:35], s[16:17], v[102:103] op_sel_hi:[1,0,1]
	v_pk_mul_f32 v[104:105], v[116:117], s[22:23] op_sel_hi:[1,0]
	v_pk_add_f32 v[124:125], v[28:29], v[124:125]
	v_mov_b32_e32 v128, v126
	v_mov_b32_e32 v129, v103
	v_pk_add_f32 v[124:125], v[128:129], v[124:125]
	v_pk_fma_f32 v[128:129], v[32:33], s[18:19], v[104:105] op_sel_hi:[1,0,1] neg_lo:[0,0,1] neg_hi:[0,0,1]
	v_pk_fma_f32 v[104:105], v[32:33], s[18:19], v[104:105] op_sel_hi:[1,0,1]
	v_pk_mul_f32 v[108:109], v[118:119], s[26:27] op_sel_hi:[1,0]
	v_mov_b32_e32 v130, v128
	v_mov_b32_e32 v131, v105
	v_pk_add_f32 v[124:125], v[130:131], v[124:125]
	v_pk_fma_f32 v[130:131], v[30:31], s[34:35], v[108:109] op_sel_hi:[1,0,1] neg_lo:[0,0,1] neg_hi:[0,0,1]
	v_pk_fma_f32 v[108:109], v[30:31], s[34:35], v[108:109] op_sel_hi:[1,0,1]
	v_pk_mul_f32 v[110:111], v[120:121], s[42:43] op_sel_hi:[1,0]
	;; [unrolled: 6-line block ×3, first 2 shown]
	v_mov_b32_e32 v134, v132
	v_mov_b32_e32 v135, v111
	v_pk_add_f32 v[124:125], v[134:135], v[124:125]
	v_pk_fma_f32 v[134:135], v[40:41], s[20:21], v[112:113] op_sel_hi:[1,0,1] neg_lo:[0,0,1] neg_hi:[0,0,1]
	v_pk_fma_f32 v[112:113], v[40:41], s[20:21], v[112:113] op_sel_hi:[1,0,1]
	v_mov_b32_e32 v136, v134
	v_mov_b32_e32 v137, v113
	v_pk_add_f32 v[124:125], v[136:137], v[124:125]
	ds_write2_b64 v142, v[46:47], v[124:125] offset0:24 offset1:30
	v_pk_mul_f32 v[46:47], v[194:195], s[38:39] op_sel_hi:[1,0]
	v_pk_mul_f32 v[114:115], v[114:115], s[42:43] op_sel_hi:[1,0]
	v_pk_fma_f32 v[124:125], v[36:37], s[34:35], v[46:47] op_sel_hi:[1,0,1] neg_lo:[0,0,1] neg_hi:[0,0,1]
	v_pk_fma_f32 v[36:37], v[36:37], s[34:35], v[46:47] op_sel_hi:[1,0,1]
	v_mov_b32_e32 v46, v124
	v_mov_b32_e32 v47, v37
	v_pk_fma_f32 v[136:137], v[34:35], s[14:15], v[114:115] op_sel_hi:[1,0,1] neg_lo:[0,0,1] neg_hi:[0,0,1]
	v_pk_fma_f32 v[34:35], v[34:35], s[14:15], v[114:115] op_sel_hi:[1,0,1]
	v_pk_add_f32 v[46:47], v[28:29], v[46:47]
	v_mov_b32_e32 v114, v136
	v_mov_b32_e32 v115, v35
	v_pk_add_f32 v[46:47], v[114:115], v[46:47]
	v_pk_mul_f32 v[114:115], v[116:117], s[30:31] op_sel_hi:[1,0]
	v_mov_b32_e32 v37, v125
	v_pk_fma_f32 v[116:117], v[32:33], s[28:29], v[114:115] op_sel_hi:[1,0,1] neg_lo:[0,0,1] neg_hi:[0,0,1]
	v_pk_fma_f32 v[32:33], v[32:33], s[28:29], v[114:115] op_sel_hi:[1,0,1]
	v_mov_b32_e32 v114, v116
	v_mov_b32_e32 v115, v33
	v_pk_add_f32 v[46:47], v[114:115], v[46:47]
	v_pk_mul_f32 v[114:115], v[118:119], s[44:45] op_sel_hi:[1,0]
	v_pk_add_f32 v[36:37], v[28:29], v[36:37]
	v_pk_fma_f32 v[118:119], v[30:31], s[18:19], v[114:115] op_sel_hi:[1,0,1] neg_lo:[0,0,1] neg_hi:[0,0,1]
	v_pk_fma_f32 v[30:31], v[30:31], s[18:19], v[114:115] op_sel_hi:[1,0,1]
	v_mov_b32_e32 v114, v118
	v_mov_b32_e32 v115, v31
	v_pk_add_f32 v[46:47], v[114:115], v[46:47]
	v_pk_mul_f32 v[114:115], v[120:121], s[24:25] op_sel_hi:[1,0]
	v_mov_b32_e32 v35, v137
	v_pk_fma_f32 v[120:121], v[38:39], s[20:21], v[114:115] op_sel_hi:[1,0,1] neg_lo:[0,0,1] neg_hi:[0,0,1]
	v_pk_fma_f32 v[38:39], v[38:39], s[20:21], v[114:115] op_sel_hi:[1,0,1]
	v_mov_b32_e32 v114, v120
	v_mov_b32_e32 v115, v39
	v_pk_add_f32 v[34:35], v[34:35], v[36:37]
	v_mov_b32_e32 v33, v117
	v_pk_add_f32 v[46:47], v[114:115], v[46:47]
	v_pk_mul_f32 v[114:115], v[146:147], s[40:41] op_sel_hi:[1,0]
	v_pk_add_f32 v[32:33], v[32:33], v[34:35]
	v_mov_b32_e32 v31, v119
	v_pk_fma_f32 v[138:139], v[40:41], s[16:17], v[114:115] op_sel_hi:[1,0,1] neg_lo:[0,0,1] neg_hi:[0,0,1]
	v_pk_fma_f32 v[40:41], v[40:41], s[16:17], v[114:115] op_sel_hi:[1,0,1]
	v_pk_add_f32 v[30:31], v[30:31], v[32:33]
	v_mov_b32_e32 v39, v121
	v_mov_b32_e32 v114, v138
	;; [unrolled: 1-line block ×3, first 2 shown]
	v_pk_add_f32 v[30:31], v[38:39], v[30:31]
	v_mov_b32_e32 v41, v139
	v_pk_add_f32 v[46:47], v[114:115], v[46:47]
	v_pk_add_f32 v[30:31], v[40:41], v[30:31]
	v_mov_b32_e32 v101, v123
	v_mov_b32_e32 v43, v45
	ds_write2_b64 v142, v[46:47], v[30:31] offset0:36 offset1:42
	v_pk_add_f32 v[30:31], v[28:29], v[100:101]
	v_mov_b32_e32 v103, v127
	v_pk_add_f32 v[28:29], v[28:29], v[42:43]
	v_mov_b32_e32 v49, v51
	;; [unrolled: 2-line block ×10, first 2 shown]
	v_pk_add_f32 v[30:31], v[112:113], v[30:31]
	v_pk_add_f32 v[28:29], v[90:91], v[28:29]
	ds_write2_b64 v142, v[30:31], v[28:29] offset0:48 offset1:54
	ds_write2_b64 v142, v[96:97], v[94:95] offset0:60 offset1:66
	ds_write_b64 v142, v[92:93] offset:576
.LBB0_9:
	s_or_b64 exec, exec, s[36:37]
	v_lshlrev_b32_e32 v56, 3, v58
	v_mov_b32_e32 v57, 0
	v_lshl_add_u64 v[36:37], s[4:5], 0, v[56:57]
	v_lshlrev_b32_e32 v56, 5, v58
	s_waitcnt lgkmcnt(0)
	s_barrier
	global_load_dwordx4 v[32:35], v56, s[6:7] offset:608
	global_load_dwordx4 v[28:31], v56, s[6:7] offset:624
	ds_read2_b64 v[38:41], v67 offset1:78
	ds_read2_b64 v[42:45], v67 offset0:156 offset1:234
	v_add_u32_e32 v54, 0x800, v67
	v_add_u32_e32 v51, 0xc00, v67
	;; [unrolled: 1-line block ×3, first 2 shown]
	ds_read2_b64 v[46:49], v54 offset0:56 offset1:134
	ds_read2_b64 v[82:85], v51 offset0:84 offset1:162
	;; [unrolled: 1-line block ×3, first 2 shown]
	s_movk_i32 s15, 0x1000
	s_mov_b32 s4, 0x3f737871
	s_mov_b32 s14, 0x3f167918
	;; [unrolled: 1-line block ×3, first 2 shown]
	s_waitcnt lgkmcnt(0)
	s_barrier
	v_lshl_add_u64 v[56:57], s[6:7], 0, v[56:57]
	s_waitcnt vmcnt(1)
	v_pk_mul_f32 v[90:91], v[42:43], v[32:33] op_sel:[0,1]
	v_mov_b32_e32 v98, v35
	s_waitcnt vmcnt(0)
	v_pk_mul_f32 v[100:101], v[82:83], v[28:29] op_sel:[0,1]
	v_mov_b32_e32 v102, v31
	v_pk_mul_f32 v[104:105], v[44:45], v[32:33] op_sel:[0,1]
	v_pk_fma_f32 v[110:111], v[42:43], v[32:33], v[90:91] op_sel:[0,0,1] op_sel_hi:[1,1,0] neg_lo:[0,0,1] neg_hi:[0,0,1]
	v_pk_fma_f32 v[42:43], v[42:43], v[32:33], v[90:91] op_sel:[0,0,1] op_sel_hi:[1,0,0]
	v_pk_mul_f32 v[90:91], v[46:47], v[98:99] op_sel_hi:[1,0]
	v_pk_fma_f32 v[112:113], v[82:83], v[28:29], v[100:101] op_sel:[0,0,1] op_sel_hi:[1,1,0] neg_lo:[0,0,1] neg_hi:[0,0,1]
	v_pk_fma_f32 v[82:83], v[82:83], v[28:29], v[100:101] op_sel:[0,0,1] op_sel_hi:[1,0,0]
	v_pk_mul_f32 v[100:101], v[86:87], v[102:103] op_sel_hi:[1,0]
	;; [unrolled: 3-line block ×3, first 2 shown]
	v_mov_b32_e32 v111, v43
	v_pk_fma_f32 v[42:43], v[46:47], v[34:35], v[90:91] op_sel:[0,0,1] op_sel_hi:[1,1,0] neg_lo:[0,0,1] neg_hi:[0,0,1]
	v_pk_fma_f32 v[46:47], v[46:47], v[34:35], v[90:91] op_sel:[0,0,1] op_sel_hi:[1,0,0]
	v_mov_b32_e32 v113, v83
	v_pk_fma_f32 v[82:83], v[86:87], v[30:31], v[100:101] op_sel:[0,0,1] op_sel_hi:[1,1,0] neg_lo:[0,0,1] neg_hi:[0,0,1]
	v_pk_fma_f32 v[86:87], v[86:87], v[30:31], v[100:101] op_sel:[0,0,1] op_sel_hi:[1,0,0]
	v_pk_mul_f32 v[108:109], v[84:85], v[28:29] op_sel:[0,1]
	v_mov_b32_e32 v115, v45
	v_pk_fma_f32 v[44:45], v[48:49], v[34:35], v[98:99] op_sel:[0,0,1] op_sel_hi:[1,1,0] neg_lo:[0,0,1] neg_hi:[0,0,1]
	v_pk_fma_f32 v[48:49], v[48:49], v[34:35], v[98:99] op_sel:[0,0,1] op_sel_hi:[1,0,0]
	v_mov_b32_e32 v43, v47
	v_mov_b32_e32 v83, v87
	v_pk_add_f32 v[46:47], v[38:39], v[110:111]
	v_pk_fma_f32 v[104:105], v[84:85], v[28:29], v[108:109] op_sel:[0,0,1] op_sel_hi:[1,1,0] neg_lo:[0,0,1] neg_hi:[0,0,1]
	v_pk_fma_f32 v[84:85], v[84:85], v[28:29], v[108:109] op_sel:[0,0,1] op_sel_hi:[1,0,0]
	v_mov_b32_e32 v45, v49
	v_pk_add_f32 v[46:47], v[46:47], v[42:43]
	v_pk_add_f32 v[48:49], v[42:43], v[112:113]
	v_pk_add_f32 v[86:87], v[110:111], v[82:83] neg_lo:[0,1] neg_hi:[0,1]
	v_pk_add_f32 v[90:91], v[42:43], v[112:113] neg_lo:[0,1] neg_hi:[0,1]
	v_pk_add_f32 v[108:109], v[110:111], v[82:83]
	v_pk_add_f32 v[98:99], v[110:111], v[42:43] neg_lo:[0,1] neg_hi:[0,1]
	v_pk_add_f32 v[100:101], v[82:83], v[112:113] neg_lo:[0,1] neg_hi:[0,1]
	;; [unrolled: 1-line block ×4, first 2 shown]
	v_pk_add_f32 v[46:47], v[46:47], v[112:113]
	v_pk_fma_f32 v[48:49], v[48:49], 0.5, v[38:39] op_sel_hi:[1,0,1] neg_lo:[1,0,0] neg_hi:[1,0,0]
	v_pk_mul_f32 v[112:113], v[86:87], s[4:5] op_sel_hi:[1,0]
	v_pk_mul_f32 v[116:117], v[90:91], s[14:15] op_sel_hi:[1,0]
	v_pk_fma_f32 v[38:39], v[108:109], 0.5, v[38:39] op_sel_hi:[1,0,1] neg_lo:[1,0,0] neg_hi:[1,0,0]
	v_pk_mul_f32 v[90:91], v[90:91], s[4:5] op_sel_hi:[1,0]
	v_pk_add_f32 v[98:99], v[98:99], v[100:101]
	v_pk_mul_f32 v[86:87], v[86:87], s[14:15] op_sel_hi:[1,0]
	v_pk_add_f32 v[46:47], v[46:47], v[82:83]
	v_pk_add_f32 v[82:83], v[48:49], v[112:113] op_sel:[0,1] op_sel_hi:[1,0]
	v_pk_add_f32 v[48:49], v[48:49], v[112:113] op_sel:[0,1] op_sel_hi:[1,0] neg_lo:[0,1] neg_hi:[0,1]
	v_pk_add_f32 v[100:101], v[38:39], v[90:91] op_sel:[0,1] op_sel_hi:[1,0] neg_lo:[0,1] neg_hi:[0,1]
	v_pk_add_f32 v[38:39], v[38:39], v[90:91] op_sel:[0,1] op_sel_hi:[1,0]
	v_pk_add_f32 v[48:49], v[48:49], v[116:117] op_sel:[0,1] op_sel_hi:[1,0] neg_lo:[0,1] neg_hi:[0,1]
	v_pk_add_f32 v[82:83], v[82:83], v[116:117] op_sel:[0,1] op_sel_hi:[1,0]
	;; [unrolled: 2-line block ×3, first 2 shown]
	v_pk_add_f32 v[42:43], v[42:43], v[110:111]
	v_mov_b32_e32 v90, v82
	v_mov_b32_e32 v91, v49
	;; [unrolled: 1-line block ×6, first 2 shown]
	v_pk_fma_f32 v[82:83], v[98:99], s[16:17], v[90:91] op_sel_hi:[1,0,1]
	v_pk_fma_f32 v[38:39], v[42:43], s[16:17], v[38:39] op_sel_hi:[1,0,1]
	v_pk_mul_f32 v[102:103], v[88:89], v[102:103] op_sel_hi:[1,0]
	v_pk_fma_f32 v[86:87], v[42:43], s[16:17], v[100:101] op_sel_hi:[1,0,1]
	ds_write2_b64 v67, v[46:47], v[82:83] offset1:78
	ds_write2_b64 v67, v[86:87], v[38:39] offset0:156 offset1:234
	v_pk_add_f32 v[38:39], v[40:41], v[114:115]
	v_mov_b32_e32 v105, v85
	v_pk_fma_f32 v[84:85], v[88:89], v[30:31], v[102:103] op_sel:[0,0,1] op_sel_hi:[1,1,0] neg_lo:[0,0,1] neg_hi:[0,0,1]
	v_pk_fma_f32 v[42:43], v[98:99], s[16:17], v[48:49] op_sel_hi:[1,0,1]
	v_pk_fma_f32 v[48:49], v[88:89], v[30:31], v[102:103] op_sel:[0,0,1] op_sel_hi:[1,0,0]
	v_pk_add_f32 v[38:39], v[38:39], v[44:45]
	v_mov_b32_e32 v85, v49
	v_pk_add_f32 v[38:39], v[38:39], v[104:105]
	v_pk_add_f32 v[48:49], v[44:45], v[104:105]
	;; [unrolled: 1-line block ×3, first 2 shown]
	ds_write2_b64 v54, v[42:43], v[38:39] offset0:56 offset1:134
	v_pk_add_f32 v[42:43], v[114:115], v[84:85]
	v_pk_fma_f32 v[48:49], v[48:49], 0.5, v[40:41] op_sel_hi:[1,0,1] neg_lo:[1,0,0] neg_hi:[1,0,0]
	v_pk_add_f32 v[88:89], v[114:115], v[84:85] neg_lo:[0,1] neg_hi:[0,1]
	v_pk_add_f32 v[90:91], v[44:45], v[104:105] neg_lo:[0,1] neg_hi:[0,1]
	v_pk_add_f32 v[98:99], v[114:115], v[44:45] neg_lo:[0,1] neg_hi:[0,1]
	v_pk_add_f32 v[100:101], v[84:85], v[104:105] neg_lo:[0,1] neg_hi:[0,1]
	v_pk_fma_f32 v[40:41], v[42:43], 0.5, v[40:41] op_sel_hi:[1,0,1] neg_lo:[1,0,0] neg_hi:[1,0,0]
	v_pk_add_f32 v[42:43], v[44:45], v[114:115] neg_lo:[0,1] neg_hi:[0,1]
	v_pk_add_f32 v[44:45], v[104:105], v[84:85] neg_lo:[0,1] neg_hi:[0,1]
	v_pk_add_f32 v[98:99], v[98:99], v[100:101]
	v_pk_fma_f32 v[100:101], v[88:89], s[4:5], v[48:49] op_sel:[1,0,0] op_sel_hi:[0,0,1] neg_lo:[1,0,0] neg_hi:[1,0,0]
	v_pk_fma_f32 v[48:49], v[88:89], s[4:5], v[48:49] op_sel:[1,0,0] op_sel_hi:[0,0,1]
	v_pk_add_f32 v[42:43], v[42:43], v[44:45]
	v_pk_fma_f32 v[44:45], v[90:91], s[4:5], v[40:41] op_sel:[1,0,0] op_sel_hi:[0,0,1]
	v_pk_fma_f32 v[40:41], v[90:91], s[4:5], v[40:41] op_sel:[1,0,0] op_sel_hi:[0,0,1] neg_lo:[1,0,0] neg_hi:[1,0,0]
	v_pk_fma_f32 v[48:49], v[90:91], s[14:15], v[48:49] op_sel:[1,0,0] op_sel_hi:[0,0,1]
	v_pk_fma_f32 v[100:101], v[90:91], s[14:15], v[100:101] op_sel:[1,0,0] op_sel_hi:[0,0,1] neg_lo:[1,0,0] neg_hi:[1,0,0]
	;; [unrolled: 2-line block ×3, first 2 shown]
	v_mov_b32_e32 v103, v49
	v_mov_b32_e32 v49, v101
	;; [unrolled: 1-line block ×5, first 2 shown]
	v_pk_fma_f32 v[38:39], v[98:99], s[16:17], v[48:49] op_sel_hi:[1,0,1]
	v_mov_b32_e32 v46, v44
	v_pk_fma_f32 v[40:41], v[42:43], s[16:17], v[40:41] op_sel_hi:[1,0,1]
	v_pk_fma_f32 v[102:103], v[98:99], s[16:17], v[102:103] op_sel_hi:[1,0,1]
	;; [unrolled: 1-line block ×3, first 2 shown]
	ds_write2_b64 v51, v[38:39], v[40:41] offset0:84 offset1:162
	ds_write2_b64 v50, v[46:47], v[102:103] offset0:112 offset1:190
	v_mul_hi_i32_i24_e32 v39, 0xffffffe8, v58
	v_mul_i32_i24_e32 v38, 0xffffffe8, v58
	v_lshl_add_u64 v[38:39], v[56:57], 0, v[38:39]
	v_add_co_u32_e64 v40, s[4:5], s15, v38
	s_waitcnt lgkmcnt(0)
	s_barrier
	v_addc_co_u32_e64 v41, s[4:5], 0, v39, s[4:5]
	global_load_dwordx2 v[90:91], v[38:39], off offset:3104
	global_load_dwordx2 v[88:89], v[38:39], off offset:3728
	global_load_dwordx2 v[86:87], v[40:41], off offset:256
	global_load_dwordx2 v[84:85], v[40:41], off offset:880
	global_load_dwordx2 v[82:83], v[40:41], off offset:1504
	ds_read2_b64 v[38:41], v54 offset0:56 offset1:134
	ds_read2_b64 v[42:45], v51 offset0:84 offset1:162
	ds_read2_b64 v[46:49], v67 offset1:78
	ds_read2_b64 v[98:101], v50 offset0:112 offset1:190
	ds_read2_b64 v[102:105], v67 offset0:156 offset1:234
	v_lshl_add_u32 v112, v192, 3, v52
	s_mov_b64 s[4:5], 0x1860
	s_waitcnt vmcnt(4) lgkmcnt(4)
	v_pk_mul_f32 v[56:57], v[40:41], v[90:91] op_sel:[0,1]
	s_waitcnt vmcnt(3) lgkmcnt(3)
	v_pk_mul_f32 v[108:109], v[42:43], v[88:89] op_sel:[0,1]
	s_waitcnt vmcnt(2)
	v_pk_mul_f32 v[110:111], v[44:45], v[86:87] op_sel:[0,1]
	s_waitcnt vmcnt(1) lgkmcnt(1)
	v_pk_mul_f32 v[114:115], v[98:99], v[84:85] op_sel:[0,1]
	v_pk_fma_f32 v[116:117], v[40:41], v[90:91], v[56:57] op_sel:[0,0,1] op_sel_hi:[1,1,0] neg_lo:[0,0,1] neg_hi:[0,0,1]
	v_pk_fma_f32 v[40:41], v[40:41], v[90:91], v[56:57] op_sel:[0,0,1] op_sel_hi:[1,0,0]
	v_pk_fma_f32 v[56:57], v[42:43], v[88:89], v[108:109] op_sel:[0,0,1] op_sel_hi:[1,1,0] neg_lo:[0,0,1] neg_hi:[0,0,1]
	v_pk_fma_f32 v[42:43], v[42:43], v[88:89], v[108:109] op_sel:[0,0,1] op_sel_hi:[1,0,0]
	;; [unrolled: 2-line block ×4, first 2 shown]
	v_mov_b32_e32 v109, v45
	v_mov_b32_e32 v111, v99
	;; [unrolled: 1-line block ×3, first 2 shown]
	s_waitcnt lgkmcnt(0)
	v_pk_add_f32 v[44:45], v[102:103], v[108:109] neg_lo:[0,1] neg_hi:[0,1]
	v_pk_add_f32 v[98:99], v[104:105], v[110:111] neg_lo:[0,1] neg_hi:[0,1]
	;; [unrolled: 1-line block ×3, first 2 shown]
	v_pk_fma_f32 v[56:57], v[102:103], 2.0, v[44:45] op_sel_hi:[1,0,1] neg_lo:[0,0,1] neg_hi:[0,0,1]
	v_pk_fma_f32 v[102:103], v[104:105], 2.0, v[98:99] op_sel_hi:[1,0,1] neg_lo:[0,0,1] neg_hi:[0,0,1]
	s_waitcnt vmcnt(0)
	v_pk_mul_f32 v[104:105], v[100:101], v[82:83] op_sel:[0,1]
	v_mov_b32_e32 v117, v41
	v_pk_fma_f32 v[108:109], v[100:101], v[82:83], v[104:105] op_sel:[0,0,1] op_sel_hi:[1,1,0] neg_lo:[0,0,1] neg_hi:[0,0,1]
	v_pk_fma_f32 v[100:101], v[100:101], v[82:83], v[104:105] op_sel:[0,0,1] op_sel_hi:[1,0,0]
	v_pk_add_f32 v[40:41], v[46:47], v[116:117] neg_lo:[0,1] neg_hi:[0,1]
	v_mov_b32_e32 v109, v101
	v_pk_add_f32 v[100:101], v[38:39], v[108:109] neg_lo:[0,1] neg_hi:[0,1]
	v_pk_fma_f32 v[46:47], v[46:47], 2.0, v[40:41] op_sel_hi:[1,0,1] neg_lo:[0,0,1] neg_hi:[0,0,1]
	v_pk_fma_f32 v[48:49], v[48:49], 2.0, v[42:43] op_sel_hi:[1,0,1] neg_lo:[0,0,1] neg_hi:[0,0,1]
	;; [unrolled: 1-line block ×3, first 2 shown]
	ds_write_b64 v67, v[40:41] offset:3120
	ds_write2_b64 v67, v[46:47], v[48:49] offset1:78
	ds_write_b64 v67, v[42:43] offset:3744
	ds_write2_b64 v67, v[56:57], v[102:103] offset0:156 offset1:234
	v_add_u32_e32 v40, 0x1000, v112
	ds_write2_b64 v40, v[44:45], v[98:99] offset0:34 offset1:112
	ds_write_b64 v67, v[38:39] offset:2496
	ds_write_b64 v112, v[100:101] offset:5616
	v_lshl_add_u64 v[38:39], v[36:37], 0, s[4:5]
	v_add_co_u32_e64 v40, s[4:5], s15, v36
	s_waitcnt lgkmcnt(0)
	s_nop 0
	v_addc_co_u32_e64 v41, s[4:5], 0, v37, s[4:5]
	s_movk_i32 s4, 0x2000
	s_barrier
	global_load_dwordx2 v[48:49], v[40:41], off offset:2144
	global_load_dwordx2 v[56:57], v[38:39], off offset:3120
	;; [unrolled: 1-line block ×3, first 2 shown]
	v_add_co_u32_e64 v36, s[4:5], s4, v36
	v_mov_b32_e32 v98, v0
	s_nop 0
	v_addc_co_u32_e64 v37, s[4:5], 0, v37, s[4:5]
	global_load_dwordx2 v[114:115], v[36:37], off offset:2416
	global_load_dwordx2 v[116:117], v[38:39], off offset:3744
	;; [unrolled: 1-line block ×7, first 2 shown]
	ds_read2_b64 v[36:39], v67 offset1:78
	ds_read2_b64 v[40:43], v54 offset0:56 offset1:134
	ds_read2_b64 v[44:47], v51 offset0:84 offset1:162
	ds_read2_b64 v[100:103], v67 offset0:156 offset1:234
	ds_read2_b64 v[108:111], v50 offset0:112 offset1:190
	v_mov_b32_e32 v99, v0
	s_waitcnt vmcnt(9) lgkmcnt(4)
	v_mul_f32_e32 v52, v37, v49
	v_mul_f32_e32 v129, v36, v49
	s_waitcnt vmcnt(8) lgkmcnt(3)
	v_mul_f32_e32 v55, v43, v57
	v_mul_f32_e32 v49, v42, v57
	s_waitcnt vmcnt(7)
	v_mul_f32_e32 v107, v39, v105
	v_mul_f32_e32 v57, v38, v105
	v_fma_f32 v128, v36, v48, -v52
	v_fmac_f32_e32 v129, v37, v48
	v_fma_f32 v48, v42, v56, -v55
	v_fmac_f32_e32 v49, v43, v56
	;; [unrolled: 2-line block ×3, first 2 shown]
	s_waitcnt vmcnt(1)
	v_mul_f32_e32 v38, v41, v125
	v_mul_f32_e32 v39, v40, v125
	s_waitcnt lgkmcnt(2)
	v_mul_f32_e32 v113, v45, v117
	v_mul_f32_e32 v105, v44, v117
	s_waitcnt lgkmcnt(1)
	v_mul_f32_e32 v130, v101, v119
	v_mul_f32_e32 v117, v100, v119
	;; [unrolled: 1-line block ×6, first 2 shown]
	v_fma_f32 v38, v40, v124, -v38
	v_fmac_f32_e32 v39, v41, v124
	s_waitcnt lgkmcnt(0)
	v_mul_f32_e32 v121, v109, v123
	v_fma_f32 v104, v44, v116, -v113
	v_fmac_f32_e32 v105, v45, v116
	v_fma_f32 v116, v100, v118, -v130
	v_fmac_f32_e32 v117, v101, v118
	;; [unrolled: 2-line block ×4, first 2 shown]
	ds_write2_b64 v67, v[128:129], v[56:57] offset1:78
	ds_write2_b64 v51, v[104:105], v[118:119] offset0:84 offset1:162
	ds_write2_b64 v67, v[116:117], v[114:115] offset0:156 offset1:234
	v_mul_f32_e32 v37, v108, v123
	ds_write2_b64 v54, v[38:39], v[48:49] offset0:56 offset1:134
	s_waitcnt vmcnt(0)
	v_mul_f32_e32 v38, v111, v127
	v_mul_f32_e32 v39, v110, v127
	v_fma_f32 v36, v108, v122, -v121
	v_fmac_f32_e32 v37, v109, v122
	v_fma_f32 v38, v110, v126, -v38
	v_fmac_f32_e32 v39, v111, v126
	ds_write2_b64 v50, v[36:37], v[38:39] offset0:112 offset1:190
	s_waitcnt lgkmcnt(0)
	s_barrier
	ds_read2_b64 v[36:39], v54 offset0:56 offset1:134
	ds_read2_b64 v[42:45], v50 offset0:112 offset1:190
	ds_read2_b64 v[46:49], v67 offset1:78
	ds_read2_b64 v[108:111], v51 offset0:84 offset1:162
	ds_read2_b64 v[114:117], v67 offset0:156 offset1:234
	s_waitcnt lgkmcnt(0)
	v_pk_add_f32 v[40:41], v[36:37], v[44:45] neg_lo:[0,1] neg_hi:[0,1]
	s_barrier
	v_pk_add_f32 v[120:121], v[48:49], v[108:109] neg_lo:[0,1] neg_hi:[0,1]
	v_pk_add_f32 v[44:45], v[116:117], v[42:43] neg_lo:[0,1] neg_hi:[0,1]
	v_pk_fma_f32 v[118:119], v[48:49], 2.0, v[120:121] op_sel_hi:[1,0,1] neg_lo:[0,0,1] neg_hi:[0,0,1]
	v_pk_add_f32 v[48:49], v[46:47], v[38:39] neg_lo:[0,1] neg_hi:[0,1]
	v_pk_add_f32 v[110:111], v[114:115], v[110:111] neg_lo:[0,1] neg_hi:[0,1]
	v_pk_fma_f32 v[42:43], v[116:117], 2.0, v[44:45] op_sel_hi:[1,0,1] neg_lo:[0,0,1] neg_hi:[0,0,1]
	v_pk_fma_f32 v[46:47], v[46:47], 2.0, v[48:49] op_sel_hi:[1,0,1] neg_lo:[0,0,1] neg_hi:[0,0,1]
	;; [unrolled: 1-line block ×3, first 2 shown]
	v_add_u32_e32 v36, 0x400, v67
	v_pk_fma_f32 v[108:109], v[114:115], 2.0, v[110:111] op_sel_hi:[1,0,1] neg_lo:[0,0,1] neg_hi:[0,0,1]
	ds_write_b128 v53, v[46:49]
	ds_write_b128 v185, v[118:121]
	;; [unrolled: 1-line block ×5, first 2 shown]
	s_waitcnt lgkmcnt(0)
	s_barrier
	ds_read2_b64 v[46:49], v36 offset0:28 offset1:132
	ds_read2_b64 v[42:45], v67 offset1:78
	ds_read2_b64 v[50:53], v50 offset0:8 offset1:86
	ds_read2_b64 v[54:57], v54 offset0:82 offset1:160
	ds_read_b64 v[104:105], v67 offset:5408
	v_mov_b32_e32 v102, v1
	v_mov_b32_e32 v103, v1
	;; [unrolled: 1-line block ×6, first 2 shown]
	s_and_saveexec_b64 s[4:5], vcc
	s_cbranch_execz .LBB0_11
; %bb.10:
	ds_read_b64 v[40:41], v67 offset:1872
	ds_read_b64 v[96:97], v67 offset:3952
	;; [unrolled: 1-line block ×3, first 2 shown]
.LBB0_11:
	s_or_b64 exec, exec, s[4:5]
	s_waitcnt lgkmcnt(4)
	v_pk_mul_f32 v[36:37], v[102:103], v[48:49]
	s_waitcnt lgkmcnt(2)
	v_pk_mul_f32 v[38:39], v[108:109], v[50:51]
	v_pk_fma_f32 v[100:101], v[98:99], v[48:49], v[36:37] op_sel:[0,0,1] op_sel_hi:[1,1,0]
	v_pk_fma_f32 v[36:37], v[98:99], v[48:49], v[36:37] op_sel:[0,0,1] op_sel_hi:[1,1,0] neg_lo:[0,0,1] neg_hi:[0,0,1]
	v_pk_fma_f32 v[48:49], v[106:107], v[50:51], v[38:39] op_sel:[0,0,1] op_sel_hi:[1,1,0]
	v_mov_b32_e32 v101, v37
	v_pk_fma_f32 v[36:37], v[106:107], v[50:51], v[38:39] op_sel:[0,0,1] op_sel_hi:[1,1,0] neg_lo:[0,0,1] neg_hi:[0,0,1]
	s_mov_b32 s4, 0x3f5db3d7
	v_mov_b32_e32 v49, v37
	v_pk_add_f32 v[38:39], v[100:101], v[48:49]
	v_pk_add_f32 v[36:37], v[42:43], v[100:101]
	v_pk_fma_f32 v[38:39], v[38:39], 0.5, v[42:43] op_sel_hi:[1,0,1] neg_lo:[1,0,0] neg_hi:[1,0,0]
	v_pk_add_f32 v[42:43], v[100:101], v[48:49] neg_lo:[0,1] neg_hi:[0,1]
	v_pk_add_f32 v[36:37], v[36:37], v[48:49]
	v_pk_mul_f32 v[42:43], v[42:43], s[4:5] op_sel_hi:[1,0]
	s_waitcnt lgkmcnt(1)
	v_mul_f32_e32 v111, v1, v57
	v_pk_add_f32 v[100:101], v[42:43], v[38:39] op_sel:[1,0] op_sel_hi:[0,1]
	v_pk_add_f32 v[38:39], v[38:39], v[42:43] op_sel:[0,1] op_sel_hi:[1,0] neg_lo:[0,1] neg_hi:[0,1]
	v_pk_mul_f32 v[42:43], v[102:103], v[54:55]
	s_waitcnt lgkmcnt(0)
	v_mul_f32_e32 v117, v3, v105
	v_pk_fma_f32 v[48:49], v[98:99], v[54:55], v[42:43] op_sel:[0,0,1] op_sel_hi:[1,1,0]
	v_pk_fma_f32 v[42:43], v[98:99], v[54:55], v[42:43] op_sel:[0,0,1] op_sel_hi:[1,1,0] neg_lo:[0,0,1] neg_hi:[0,0,1]
	v_fmac_f32_e32 v111, v0, v56
	v_mov_b32_e32 v49, v43
	v_pk_mul_f32 v[42:43], v[108:109], v[52:53]
	v_fmac_f32_e32 v117, v2, v104
	v_pk_fma_f32 v[50:51], v[106:107], v[52:53], v[42:43] op_sel:[0,0,1] op_sel_hi:[1,1,0]
	v_pk_fma_f32 v[42:43], v[106:107], v[52:53], v[42:43] op_sel:[0,0,1] op_sel_hi:[1,1,0] neg_lo:[0,0,1] neg_hi:[0,0,1]
	v_mul_f32_e32 v114, v0, v57
	v_mov_b32_e32 v51, v43
	v_pk_add_f32 v[52:53], v[48:49], v[50:51]
	v_pk_add_f32 v[42:43], v[44:45], v[48:49]
	v_mul_f32_e32 v56, v1, v56
	v_mul_f32_e32 v118, v2, v105
	v_pk_add_f32 v[42:43], v[42:43], v[50:51]
	v_fma_f32 v54, -0.5, v53, v45
	v_sub_f32_e32 v45, v48, v50
	v_add_f32_e32 v50, v111, v117
	v_mov_b32_e32 v103, 0.5
	v_mov_b32_e32 v102, v3
	v_mov_b32_e32 v105, v52
	;; [unrolled: 1-line block ×5, first 2 shown]
	v_fma_f32 v116, -0.5, v50, v46
	v_pk_fma_f32 v[52:53], v[102:103], v[104:105], v[118:119] neg_lo:[1,0,0] neg_hi:[1,0,0]
	v_pk_add_f32 v[50:51], v[114:115], v[56:57] neg_lo:[0,1] neg_hi:[0,1]
	s_mov_b32 s5, s4
	v_mov_b32_e32 v98, 0x3f5db3d7
	v_pk_mul_f32 v[102:103], v[50:51], s[4:5]
	v_add_f32_e32 v44, v50, v52
	v_pk_mul_f32 v[120:121], v[0:1], v[96:97] op_sel:[0,1]
	v_mul_f32_e32 v48, 0x3f5db3d7, v45
	v_mov_b32_e32 v99, v46
	v_mov_b32_e32 v56, v47
	;; [unrolled: 1-line block ×5, first 2 shown]
	v_fma_f32 v44, -0.5, v44, v47
	v_sub_f32_e32 v46, v111, v117
	v_pk_mul_f32 v[122:123], v[2:3], v[94:95] op_sel:[0,1]
	v_pk_add_f32 v[56:57], v[56:57], v[50:51]
	v_pk_add_f32 v[106:107], v[54:55], v[48:49] neg_lo:[0,1] neg_hi:[0,1]
	v_pk_add_f32 v[48:49], v[50:51], v[52:53] neg_lo:[0,1] neg_hi:[0,1]
	v_mul_f32_e32 v50, 0x3f5db3d7, v46
	v_fmamk_f32 v51, v46, 0x3f5db3d7, v44
	v_pk_fma_f32 v[46:47], v[0:1], v[96:97], v[120:121] op_sel:[0,0,1] op_sel_hi:[1,1,0]
	v_pk_fma_f32 v[0:1], v[0:1], v[96:97], v[120:121] op_sel:[0,0,1] op_sel_hi:[1,0,0] neg_lo:[1,0,0] neg_hi:[1,0,0]
	v_mov_b32_e32 v57, v103
	v_mov_b32_e32 v47, v1
	v_pk_fma_f32 v[0:1], v[2:3], v[94:95], v[122:123] op_sel:[0,0,1] op_sel_hi:[1,1,0]
	v_pk_fma_f32 v[2:3], v[2:3], v[94:95], v[122:123] op_sel:[0,0,1] op_sel_hi:[1,0,0] neg_lo:[1,0,0] neg_hi:[1,0,0]
	v_mov_b32_e32 v110, v48
	v_mov_b32_e32 v1, v3
	v_pk_add_f32 v[2:3], v[40:41], v[46:47]
	v_fmamk_f32 v45, v45, 0x3f5db3d7, v54
	v_pk_mul_f32 v[48:49], v[48:49], s[4:5]
	v_pk_add_f32 v[54:55], v[98:99], v[110:111]
	v_pk_add_f32 v[104:105], v[56:57], v[52:53]
	v_pk_add_f32 v[2:3], v[2:3], v[0:1]
	v_pk_add_f32 v[52:53], v[46:47], v[0:1]
	v_pk_add_f32 v[0:1], v[46:47], v[0:1] neg_lo:[0,1] neg_hi:[0,1]
	v_mov_b32_e32 v49, v55
	v_pk_fma_f32 v[40:41], v[52:53], 0.5, v[40:41] op_sel_hi:[1,0,1] neg_lo:[1,0,0] neg_hi:[1,0,0]
	v_pk_mul_f32 v[0:1], v[0:1], s[4:5] op_sel_hi:[1,0]
	v_pk_add_f32 v[102:103], v[48:49], v[116:117]
	v_mov_b32_e32 v46, v41
	v_mov_b32_e32 v117, v40
	v_pk_add_f32 v[110:111], v[0:1], v[40:41] op_sel:[1,0] op_sel_hi:[0,1]
	v_mov_b32_e32 v40, v38
	v_mov_b32_e32 v41, v101
	;; [unrolled: 1-line block ×3, first 2 shown]
	s_barrier
	ds_write2_b64 v188, v[36:37], v[40:41] offset1:2
	v_mov_b32_e32 v40, v100
	v_mov_b32_e32 v41, v39
	v_pk_add_f32 v[108:109], v[116:117], v[48:49] neg_lo:[0,1] neg_hi:[0,1]
	v_mov_b32_e32 v47, v44
	v_mov_b32_e32 v1, v50
	ds_write_b64 v188, v[40:41] offset:32
	v_mov_b32_e32 v40, v105
	v_mov_b32_e32 v41, v106
	v_pk_add_f32 v[0:1], v[46:47], v[0:1] neg_lo:[0,1] neg_hi:[0,1]
	v_mov_b32_e32 v44, v107
	ds_write_b64 v189, v[40:41] offset:32
	v_mov_b32_e32 v40, v103
	v_mov_b32_e32 v41, v104
	;; [unrolled: 1-line block ×3, first 2 shown]
	ds_write2_b64 v189, v[42:43], v[44:45] offset1:2
	ds_write2_b64 v190, v[40:41], v[50:51] offset1:2
	v_mov_b32_e32 v40, v102
	v_mov_b32_e32 v41, v1
	ds_write_b64 v190, v[40:41] offset:32
	s_and_saveexec_b64 s[4:5], vcc
	s_cbranch_execz .LBB0_13
; %bb.12:
	v_mul_u32_u24_e32 v40, 6, v191
	v_or_b32_e32 v40, v40, v59
	v_lshl_add_u32 v44, v40, 3, v182
	v_mov_b32_e32 v40, v109
	v_mov_b32_e32 v41, v111
	ds_write2_b64 v44, v[2:3], v[40:41] offset1:2
	v_mov_b32_e32 v40, v110
	v_mov_b32_e32 v41, v0
	ds_write_b64 v44, v[40:41] offset:32
.LBB0_13:
	s_or_b64 exec, exec, s[4:5]
	s_waitcnt lgkmcnt(0)
	s_barrier
	s_and_saveexec_b64 s[4:5], s[2:3]
	s_xor_b64 s[2:3], exec, s[4:5]
	s_andn2_saveexec_b64 s[2:3], s[2:3]
	s_cbranch_execz .LBB0_15
; %bb.14:
	v_add_u32_e32 v0, 0x400, v67
	ds_read2_b64 v[36:39], v67 offset1:60
	ds_read2_b64 v[40:43], v67 offset0:120 offset1:180
	ds_read2_b64 v[44:47], v0 offset0:112 offset1:172
	v_add_u32_e32 v0, 0x1000, v67
	v_add_u32_e32 v48, 0x800, v67
	ds_read2_b64 v[52:55], v0 offset0:88 offset1:148
	v_add_u32_e32 v0, 0xc00, v67
	ds_read2_b64 v[0:3], v0 offset0:96 offset1:156
	ds_read2_b64 v[48:51], v48 offset0:104 offset1:164
	ds_read_b64 v[92:93], v67 offset:5760
	s_waitcnt lgkmcnt(4)
	v_mov_b32_e32 v105, v46
	v_mov_b32_e32 v100, v40
	s_waitcnt lgkmcnt(3)
	v_mov_b32_e32 v110, v54
	v_mov_b32_e32 v111, v53
	s_waitcnt lgkmcnt(2)
	v_mov_b32_e32 v102, v0
	s_waitcnt lgkmcnt(1)
	v_mov_b32_e32 v103, v48
	v_mov_b32_e32 v104, v49
	;; [unrolled: 1-line block ×9, first 2 shown]
.LBB0_15:
	s_or_b64 exec, exec, s[2:3]
	v_mov_b32_e32 v98, v32
	v_mov_b32_e32 v99, v32
	;; [unrolled: 1-line block ×21, first 2 shown]
	v_add_u32_e32 v59, 0x4e0, v112
	v_mov_b32_e32 v46, v84
	v_mov_b32_e32 v47, v84
	;; [unrolled: 1-line block ×3, first 2 shown]
	v_add_u32_e32 v113, 0x750, v112
	v_mov_b32_e32 v40, v82
	v_mov_b32_e32 v41, v82
	;; [unrolled: 1-line block ×3, first 2 shown]
	v_add_u32_e32 v112, 0x9c0, v112
	s_waitcnt lgkmcnt(0)
	s_barrier
	s_and_saveexec_b64 s[2:3], s[0:1]
	s_cbranch_execz .LBB0_17
; %bb.16:
	v_mul_u32_u24_e32 v132, 0x4e, v186
	v_pk_mul_f32 v[116:117], v[26:27], v[92:93] op_sel:[0,1]
	v_mov_b32_e32 v44, v45
	v_pk_mul_f32 v[126:127], v[20:21], v[2:3] op_sel:[0,1]
	v_add_u32_e32 v132, v132, v187
	v_pk_mul_f32 v[120:121], v[24:25], v[0:1] op_sel_hi:[1,0]
	v_pk_mul_f32 v[44:45], v[6:7], v[44:45] op_sel_hi:[1,0]
	v_pk_mul_f32 v[0:1], v[18:19], v[0:1] op_sel:[0,1]
	v_lshl_add_u32 v214, v132, 3, v182
	v_pk_fma_f32 v[132:133], v[26:27], v[92:93], v[116:117] op_sel:[0,0,1] op_sel_hi:[1,1,0]
	v_pk_fma_f32 v[26:27], v[26:27], v[92:93], v[116:117] op_sel:[0,0,1] op_sel_hi:[1,0,0] neg_lo:[1,0,0] neg_hi:[1,0,0]
	v_pk_fma_f32 v[92:93], v[20:21], v[2:3], v[126:127] op_sel:[0,0,1] op_sel_hi:[1,1,0]
	v_pk_fma_f32 v[2:3], v[20:21], v[2:3], v[126:127] op_sel:[0,0,1] op_sel_hi:[1,0,0] neg_lo:[1,0,0] neg_hi:[1,0,0]
	v_pk_mul_f32 v[124:125], v[22:23], v[110:111] op_sel:[0,1]
	v_pk_mul_f32 v[128:129], v[12:13], v[106:107] op_sel_hi:[1,0]
	v_mov_b32_e32 v50, v51
	v_mov_b32_e32 v133, v27
	v_pk_fma_f32 v[26:27], v[24:25], v[110:111], v[120:121] op_sel:[0,0,1] op_sel_hi:[1,1,0]
	v_pk_fma_f32 v[24:25], v[24:25], v[110:111], v[120:121] op_sel:[0,0,1] op_sel_hi:[1,0,0] neg_lo:[1,0,0] neg_hi:[1,0,0]
	v_mov_b32_e32 v93, v3
	v_pk_fma_f32 v[110:111], v[6:7], v[106:107], v[44:45] op_sel:[0,1,1] op_sel_hi:[1,1,0]
	v_pk_fma_f32 v[2:3], v[6:7], v[106:107], v[44:45] op_sel:[0,1,1] op_sel_hi:[1,1,0] neg_lo:[1,0,0] neg_hi:[1,0,0]
	v_pk_fma_f32 v[106:107], v[18:19], v[102:103], v[0:1] op_sel:[0,0,1] op_sel_hi:[1,1,0]
	v_pk_fma_f32 v[0:1], v[18:19], v[102:103], v[0:1] op_sel:[0,0,1] op_sel_hi:[1,0,0] neg_lo:[1,0,0] neg_hi:[1,0,0]
	v_pk_mul_f32 v[50:51], v[16:17], v[50:51] op_sel_hi:[1,0]
	v_mov_b32_e32 v107, v1
	v_pk_fma_f32 v[116:117], v[12:13], v[104:105], v[128:129] op_sel:[0,1,1] op_sel_hi:[1,1,0]
	v_pk_fma_f32 v[0:1], v[12:13], v[104:105], v[128:129] op_sel:[0,1,1] op_sel_hi:[1,1,0] neg_lo:[1,0,0] neg_hi:[1,0,0]
	v_pk_mul_f32 v[130:131], v[14:15], v[104:105] op_sel_hi:[1,0]
	v_mov_b32_e32 v117, v1
	v_pk_fma_f32 v[120:121], v[16:17], v[108:109], v[50:51] op_sel:[0,0,1] op_sel_hi:[1,1,0]
	v_pk_fma_f32 v[0:1], v[16:17], v[108:109], v[50:51] op_sel:[0,0,1] op_sel_hi:[1,0,0] neg_lo:[1,0,0] neg_hi:[1,0,0]
	v_pk_mul_f32 v[114:115], v[8:9], v[100:101] op_sel:[0,1]
	v_mov_b32_e32 v27, v25
	v_pk_fma_f32 v[24:25], v[22:23], v[108:109], v[124:125] op_sel:[0,1,1] op_sel_hi:[1,1,0]
	v_pk_fma_f32 v[22:23], v[22:23], v[108:109], v[124:125] op_sel:[0,1,1] op_sel_hi:[1,1,0] neg_lo:[1,0,0] neg_hi:[1,0,0]
	v_mov_b32_e32 v121, v1
	v_pk_fma_f32 v[108:109], v[14:15], v[102:103], v[130:131] op_sel:[0,1,1] op_sel_hi:[1,1,0]
	v_pk_fma_f32 v[0:1], v[14:15], v[102:103], v[130:131] op_sel:[0,1,1] op_sel_hi:[1,1,0] neg_lo:[1,0,0] neg_hi:[1,0,0]
	v_pk_mul_f32 v[118:119], v[10:11], v[38:39] op_sel:[0,1]
	v_mov_b32_e32 v111, v3
	v_mov_b32_e32 v109, v1
	v_pk_fma_f32 v[0:1], v[8:9], v[38:39], v[114:115] op_sel:[0,0,1] op_sel_hi:[1,1,0]
	v_pk_fma_f32 v[2:3], v[8:9], v[38:39], v[114:115] op_sel:[0,0,1] op_sel_hi:[1,0,0] neg_lo:[1,0,0] neg_hi:[1,0,0]
	v_pk_mul_f32 v[122:123], v[4:5], v[42:43] op_sel:[0,1]
	v_mov_b32_e32 v1, v3
	v_pk_fma_f32 v[38:39], v[10:11], v[100:101], v[118:119] op_sel:[0,0,1] op_sel_hi:[1,1,0]
	v_pk_fma_f32 v[2:3], v[10:11], v[100:101], v[118:119] op_sel:[0,0,1] op_sel_hi:[1,0,0] neg_lo:[1,0,0] neg_hi:[1,0,0]
	v_pk_fma_f32 v[100:101], v[4:5], v[42:43], v[122:123] op_sel:[0,0,1] op_sel_hi:[1,1,0]
	v_mov_b32_e32 v39, v3
	v_pk_fma_f32 v[2:3], v[4:5], v[42:43], v[122:123] op_sel:[0,0,1] op_sel_hi:[1,0,0] neg_lo:[1,0,0] neg_hi:[1,0,0]
	v_pk_add_f32 v[114:115], v[0:1], v[132:133] neg_lo:[0,1] neg_hi:[0,1]
	s_mov_b32 s0, 0xbeedf032
	v_mov_b32_e32 v101, v3
	v_pk_add_f32 v[118:119], v[132:133], v[0:1]
	s_mov_b32 s6, 0x3f62ad3f
	v_pk_mul_f32 v[2:3], v[114:115], s[0:1] op_sel_hi:[1,0]
	v_pk_add_f32 v[42:43], v[0:1], v[36:37]
	v_pk_add_f32 v[122:123], v[38:39], v[26:27] neg_lo:[0,1] neg_hi:[0,1]
	v_pk_fma_f32 v[0:1], v[118:119], s[6:7], v[2:3] op_sel:[0,0,1] op_sel_hi:[1,0,0]
	v_pk_fma_f32 v[2:3], v[118:119], s[6:7], v[2:3] op_sel:[0,0,1] op_sel_hi:[1,0,0] neg_lo:[0,0,1] neg_hi:[0,0,1]
	v_pk_add_f32 v[124:125], v[26:27], v[38:39]
	v_mov_b32_e32 v4, v0
	v_mov_b32_e32 v5, v3
	s_mov_b32 s4, 0x3f116cb1
	v_pk_mul_f32 v[6:7], v[122:123], s[22:23] op_sel_hi:[1,0]
	v_mov_b32_e32 v25, v23
	v_pk_add_f32 v[8:9], v[36:37], v[4:5]
	v_pk_fma_f32 v[4:5], v[124:125], s[4:5], v[6:7] op_sel:[0,0,1] op_sel_hi:[1,0,0]
	v_pk_fma_f32 v[6:7], v[124:125], s[4:5], v[6:7] op_sel:[0,0,1] op_sel_hi:[1,0,0] neg_lo:[0,0,1] neg_hi:[0,0,1]
	v_pk_add_f32 v[126:127], v[100:101], v[24:25] neg_lo:[0,1] neg_hi:[0,1]
	v_mov_b32_e32 v10, v4
	v_mov_b32_e32 v11, v7
	s_mov_b32 s30, 0xbf7e222b
	v_pk_add_f32 v[128:129], v[24:25], v[100:101]
	v_pk_add_f32 v[12:13], v[10:11], v[8:9]
	s_mov_b32 s0, 0x3df6dbef
	v_pk_mul_f32 v[10:11], v[126:127], s[30:31] op_sel_hi:[1,0]
	v_pk_add_f32 v[130:131], v[110:111], v[92:93] neg_lo:[0,1] neg_hi:[0,1]
	v_pk_fma_f32 v[8:9], v[128:129], s[0:1], v[10:11] op_sel:[0,0,1] op_sel_hi:[1,0,0]
	v_pk_fma_f32 v[10:11], v[128:129], s[0:1], v[10:11] op_sel:[0,0,1] op_sel_hi:[1,0,0] neg_lo:[0,0,1] neg_hi:[0,0,1]
	v_mov_b32_e32 v14, v8
	v_mov_b32_e32 v15, v11
	s_mov_b32 s16, 0xbf6f5d39
	v_pk_add_f32 v[38:39], v[38:39], v[42:43]
	v_pk_add_f32 v[134:135], v[92:93], v[110:111]
	;; [unrolled: 1-line block ×3, first 2 shown]
	s_mov_b32 s14, 0xbeb58ec6
	v_pk_mul_f32 v[14:15], v[130:131], s[16:17] op_sel_hi:[1,0]
	v_pk_add_f32 v[38:39], v[100:101], v[38:39]
	v_pk_fma_f32 v[12:13], v[134:135], s[14:15], v[14:15] op_sel:[0,0,1] op_sel_hi:[1,0,0]
	v_pk_fma_f32 v[14:15], v[134:135], s[14:15], v[14:15] op_sel:[0,0,1] op_sel_hi:[1,0,0] neg_lo:[0,0,1] neg_hi:[0,0,1]
	v_pk_add_f32 v[38:39], v[110:111], v[38:39]
	v_pk_add_f32 v[104:105], v[116:117], v[106:107] neg_lo:[0,1] neg_hi:[0,1]
	v_mov_b32_e32 v18, v12
	v_mov_b32_e32 v19, v15
	s_mov_b32 s20, 0xbf29c268
	v_pk_add_f32 v[38:39], v[116:117], v[38:39]
	v_pk_add_f32 v[102:103], v[106:107], v[116:117]
	;; [unrolled: 1-line block ×3, first 2 shown]
	s_mov_b32 s18, 0xbf3f9e67
	v_pk_mul_f32 v[18:19], v[104:105], s[20:21] op_sel_hi:[1,0]
	v_pk_add_f32 v[38:39], v[108:109], v[38:39]
	v_pk_fma_f32 v[16:17], v[102:103], s[18:19], v[18:19] op_sel:[0,0,1] op_sel_hi:[1,0,0]
	v_pk_fma_f32 v[18:19], v[102:103], s[18:19], v[18:19] op_sel:[0,0,1] op_sel_hi:[1,0,0] neg_lo:[0,0,1] neg_hi:[0,0,1]
	v_pk_add_f32 v[38:39], v[120:121], v[38:39]
	v_pk_add_f32 v[50:51], v[108:109], v[120:121] neg_lo:[0,1] neg_hi:[0,1]
	v_mov_b32_e32 v22, v16
	v_mov_b32_e32 v23, v19
	s_mov_b32 s26, 0xbe750f2a
	v_pk_add_f32 v[38:39], v[106:107], v[38:39]
	v_pk_add_f32 v[44:45], v[120:121], v[108:109]
	;; [unrolled: 1-line block ×3, first 2 shown]
	s_mov_b32 s24, 0xbf788fa5
	v_pk_mul_f32 v[22:23], v[50:51], s[26:27] op_sel_hi:[1,0]
	v_pk_add_f32 v[38:39], v[92:93], v[38:39]
	v_pk_fma_f32 v[20:21], v[44:45], s[24:25], v[22:23] op_sel:[0,0,1] op_sel_hi:[1,0,0]
	v_pk_fma_f32 v[22:23], v[44:45], s[24:25], v[22:23] op_sel:[0,0,1] op_sel_hi:[1,0,0] neg_lo:[0,0,1] neg_hi:[0,0,1]
	v_pk_add_f32 v[24:25], v[24:25], v[38:39]
	v_mov_b32_e32 v138, v20
	v_mov_b32_e32 v139, v23
	v_pk_add_f32 v[24:25], v[26:27], v[24:25]
	v_pk_add_f32 v[136:137], v[138:139], v[136:137]
	;; [unrolled: 1-line block ×3, first 2 shown]
	v_pk_mul_f32 v[26:27], v[114:115], s[22:23] op_sel_hi:[1,0]
	ds_write2_b64 v214, v[24:25], v[136:137] offset1:6
	v_pk_fma_f32 v[24:25], v[118:119], s[4:5], v[26:27] op_sel:[0,0,1] op_sel_hi:[1,0,0]
	v_pk_fma_f32 v[26:27], v[118:119], s[4:5], v[26:27] op_sel:[0,0,1] op_sel_hi:[1,0,0] neg_lo:[0,0,1] neg_hi:[0,0,1]
	v_mov_b32_e32 v38, v24
	v_mov_b32_e32 v39, v27
	v_pk_mul_f32 v[42:43], v[122:123], s[16:17] op_sel_hi:[1,0]
	v_pk_add_f32 v[92:93], v[36:37], v[38:39]
	v_pk_fma_f32 v[38:39], v[124:125], s[14:15], v[42:43] op_sel:[0,0,1] op_sel_hi:[1,0,0]
	v_pk_fma_f32 v[42:43], v[124:125], s[14:15], v[42:43] op_sel:[0,0,1] op_sel_hi:[1,0,0] neg_lo:[0,0,1] neg_hi:[0,0,1]
	v_mov_b32_e32 v100, v38
	v_mov_b32_e32 v101, v43
	v_pk_add_f32 v[106:107], v[100:101], v[92:93]
	v_pk_mul_f32 v[100:101], v[126:127], s[26:27] op_sel_hi:[1,0]
	s_mov_b32 s36, 0x3f29c268
	v_pk_fma_f32 v[92:93], v[128:129], s[24:25], v[100:101] op_sel:[0,0,1] op_sel_hi:[1,0,0]
	v_pk_fma_f32 v[100:101], v[128:129], s[24:25], v[100:101] op_sel:[0,0,1] op_sel_hi:[1,0,0] neg_lo:[0,0,1] neg_hi:[0,0,1]
	v_mov_b32_e32 v108, v92
	v_mov_b32_e32 v109, v101
	v_pk_add_f32 v[110:111], v[108:109], v[106:107]
	v_pk_mul_f32 v[108:109], v[130:131], s[36:37] op_sel_hi:[1,0]
	s_mov_b32 s28, 0x3f7e222b
	;; [unrolled: 7-line block ×3, first 2 shown]
	v_pk_fma_f32 v[120:121], v[102:103], s[0:1], v[116:117] op_sel:[0,0,1] op_sel_hi:[1,0,0]
	v_pk_fma_f32 v[116:117], v[102:103], s[0:1], v[116:117] op_sel:[0,0,1] op_sel_hi:[1,0,0] neg_lo:[0,0,1] neg_hi:[0,0,1]
	v_mov_b32_e32 v132, v120
	v_mov_b32_e32 v133, v117
	v_pk_add_f32 v[110:111], v[132:133], v[110:111]
	v_pk_mul_f32 v[132:133], v[50:51], s[34:35] op_sel_hi:[1,0]
	v_pk_mul_f32 v[144:145], v[122:123], s[26:27] op_sel_hi:[1,0]
	v_pk_fma_f32 v[136:137], v[44:45], s[6:7], v[132:133] op_sel:[0,0,1] op_sel_hi:[1,0,0]
	v_pk_fma_f32 v[132:133], v[44:45], s[6:7], v[132:133] op_sel:[0,0,1] op_sel_hi:[1,0,0] neg_lo:[0,0,1] neg_hi:[0,0,1]
	v_mov_b32_e32 v138, v136
	v_mov_b32_e32 v139, v133
	v_pk_add_f32 v[110:111], v[138:139], v[110:111]
	v_pk_mul_f32 v[138:139], v[114:115], s[30:31] op_sel_hi:[1,0]
	v_pk_fma_f32 v[146:147], v[124:125], s[24:25], v[144:145] op_sel:[0,0,1] op_sel_hi:[1,0,0]
	v_pk_fma_f32 v[140:141], v[118:119], s[0:1], v[138:139] op_sel:[0,0,1] op_sel_hi:[1,0,0]
	v_pk_fma_f32 v[138:139], v[118:119], s[0:1], v[138:139] op_sel:[0,0,1] op_sel_hi:[1,0,0] neg_lo:[0,0,1] neg_hi:[0,0,1]
	v_mov_b32_e32 v142, v140
	v_mov_b32_e32 v143, v139
	v_pk_fma_f32 v[144:145], v[124:125], s[24:25], v[144:145] op_sel:[0,0,1] op_sel_hi:[1,0,0] neg_lo:[0,0,1] neg_hi:[0,0,1]
	v_pk_add_f32 v[142:143], v[36:37], v[142:143]
	v_mov_b32_e32 v148, v146
	v_mov_b32_e32 v149, v145
	s_mov_b32 s38, 0x3f6f5d39
	v_pk_add_f32 v[142:143], v[148:149], v[142:143]
	v_pk_mul_f32 v[148:149], v[126:127], s[38:39] op_sel_hi:[1,0]
	v_pk_mul_f32 v[166:167], v[122:123], s[36:37] op_sel_hi:[1,0]
	v_pk_fma_f32 v[150:151], v[128:129], s[14:15], v[148:149] op_sel:[0,0,1] op_sel_hi:[1,0,0]
	v_pk_fma_f32 v[148:149], v[128:129], s[14:15], v[148:149] op_sel:[0,0,1] op_sel_hi:[1,0,0] neg_lo:[0,0,1] neg_hi:[0,0,1]
	v_mov_b32_e32 v152, v150
	v_mov_b32_e32 v153, v149
	v_pk_add_f32 v[142:143], v[152:153], v[142:143]
	v_pk_mul_f32 v[152:153], v[130:131], s[34:35] op_sel_hi:[1,0]
	v_pk_fma_f32 v[168:169], v[124:125], s[18:19], v[166:167] op_sel:[0,0,1] op_sel_hi:[1,0,0]
	v_pk_fma_f32 v[154:155], v[134:135], s[6:7], v[152:153] op_sel:[0,0,1] op_sel_hi:[1,0,0]
	v_pk_fma_f32 v[152:153], v[134:135], s[6:7], v[152:153] op_sel:[0,0,1] op_sel_hi:[1,0,0] neg_lo:[0,0,1] neg_hi:[0,0,1]
	v_mov_b32_e32 v156, v154
	v_mov_b32_e32 v157, v153
	v_pk_add_f32 v[142:143], v[156:157], v[142:143]
	v_pk_mul_f32 v[156:157], v[104:105], s[22:23] op_sel_hi:[1,0]
	v_pk_fma_f32 v[166:167], v[124:125], s[18:19], v[166:167] op_sel:[0,0,1] op_sel_hi:[1,0,0] neg_lo:[0,0,1] neg_hi:[0,0,1]
	v_pk_fma_f32 v[158:159], v[102:103], s[4:5], v[156:157] op_sel:[0,0,1] op_sel_hi:[1,0,0]
	v_pk_fma_f32 v[156:157], v[102:103], s[4:5], v[156:157] op_sel:[0,0,1] op_sel_hi:[1,0,0] neg_lo:[0,0,1] neg_hi:[0,0,1]
	v_mov_b32_e32 v160, v158
	v_mov_b32_e32 v161, v157
	v_pk_add_f32 v[142:143], v[160:161], v[142:143]
	v_pk_mul_f32 v[160:161], v[50:51], s[20:21] op_sel_hi:[1,0]
	v_mov_b32_e32 v170, v168
	v_pk_fma_f32 v[162:163], v[44:45], s[18:19], v[160:161] op_sel:[0,0,1] op_sel_hi:[1,0,0]
	v_pk_fma_f32 v[160:161], v[44:45], s[18:19], v[160:161] op_sel:[0,0,1] op_sel_hi:[1,0,0] neg_lo:[0,0,1] neg_hi:[0,0,1]
	v_mov_b32_e32 v164, v162
	v_mov_b32_e32 v165, v161
	v_pk_add_f32 v[142:143], v[164:165], v[142:143]
	ds_write2_b64 v214, v[110:111], v[142:143] offset0:12 offset1:18
	v_pk_mul_f32 v[110:111], v[114:115], s[16:17] op_sel_hi:[1,0]
	v_mov_b32_e32 v171, v167
	v_pk_fma_f32 v[142:143], v[118:119], s[14:15], v[110:111] op_sel:[0,0,1] op_sel_hi:[1,0,0]
	v_pk_fma_f32 v[110:111], v[118:119], s[14:15], v[110:111] op_sel:[0,0,1] op_sel_hi:[1,0,0] neg_lo:[0,0,1] neg_hi:[0,0,1]
	v_mov_b32_e32 v164, v142
	v_mov_b32_e32 v165, v111
	v_pk_add_f32 v[164:165], v[36:37], v[164:165]
	s_mov_b32 s36, 0x3f52af12
	v_pk_add_f32 v[164:165], v[170:171], v[164:165]
	v_pk_mul_f32 v[170:171], v[126:127], s[34:35] op_sel_hi:[1,0]
	v_pk_mul_f32 v[188:189], v[122:123], s[28:29] op_sel_hi:[1,0]
	v_pk_fma_f32 v[172:173], v[128:129], s[6:7], v[170:171] op_sel:[0,0,1] op_sel_hi:[1,0,0]
	v_pk_fma_f32 v[170:171], v[128:129], s[6:7], v[170:171] op_sel:[0,0,1] op_sel_hi:[1,0,0] neg_lo:[0,0,1] neg_hi:[0,0,1]
	v_mov_b32_e32 v174, v172
	v_mov_b32_e32 v175, v171
	v_pk_add_f32 v[164:165], v[174:175], v[164:165]
	v_pk_mul_f32 v[174:175], v[130:131], s[30:31] op_sel_hi:[1,0]
	s_mov_b32 s30, 0x3e750f2a
	v_pk_fma_f32 v[176:177], v[134:135], s[0:1], v[174:175] op_sel:[0,0,1] op_sel_hi:[1,0,0]
	v_pk_fma_f32 v[174:175], v[134:135], s[0:1], v[174:175] op_sel:[0,0,1] op_sel_hi:[1,0,0] neg_lo:[0,0,1] neg_hi:[0,0,1]
	v_mov_b32_e32 v178, v176
	v_mov_b32_e32 v179, v175
	v_pk_add_f32 v[164:165], v[178:179], v[164:165]
	v_pk_mul_f32 v[178:179], v[104:105], s[30:31] op_sel_hi:[1,0]
	v_pk_fma_f32 v[202:203], v[124:125], s[0:1], v[188:189] op_sel:[0,0,1] op_sel_hi:[1,0,0]
	v_pk_fma_f32 v[180:181], v[102:103], s[24:25], v[178:179] op_sel:[0,0,1] op_sel_hi:[1,0,0]
	v_pk_fma_f32 v[178:179], v[102:103], s[24:25], v[178:179] op_sel:[0,0,1] op_sel_hi:[1,0,0] neg_lo:[0,0,1] neg_hi:[0,0,1]
	v_mov_b32_e32 v182, v180
	v_mov_b32_e32 v183, v179
	v_pk_add_f32 v[164:165], v[182:183], v[164:165]
	v_pk_mul_f32 v[182:183], v[50:51], s[36:37] op_sel_hi:[1,0]
	v_pk_fma_f32 v[188:189], v[124:125], s[0:1], v[188:189] op_sel:[0,0,1] op_sel_hi:[1,0,0] neg_lo:[0,0,1] neg_hi:[0,0,1]
	v_pk_fma_f32 v[184:185], v[44:45], s[4:5], v[182:183] op_sel:[0,0,1] op_sel_hi:[1,0,0]
	v_pk_fma_f32 v[182:183], v[44:45], s[4:5], v[182:183] op_sel:[0,0,1] op_sel_hi:[1,0,0] neg_lo:[0,0,1] neg_hi:[0,0,1]
	v_mov_b32_e32 v186, v184
	v_mov_b32_e32 v187, v183
	v_pk_add_f32 v[164:165], v[186:187], v[164:165]
	v_pk_mul_f32 v[186:187], v[114:115], s[20:21] op_sel_hi:[1,0]
	v_pk_mul_f32 v[190:191], v[126:127], s[22:23] op_sel_hi:[1,0]
	v_pk_fma_f32 v[198:199], v[118:119], s[18:19], v[186:187] op_sel:[0,0,1] op_sel_hi:[1,0,0]
	v_pk_fma_f32 v[186:187], v[118:119], s[18:19], v[186:187] op_sel:[0,0,1] op_sel_hi:[1,0,0] neg_lo:[0,0,1] neg_hi:[0,0,1]
	v_mov_b32_e32 v200, v198
	v_mov_b32_e32 v201, v187
	v_pk_add_f32 v[200:201], v[36:37], v[200:201]
	v_mov_b32_e32 v204, v202
	v_mov_b32_e32 v205, v189
	v_pk_add_f32 v[200:201], v[204:205], v[200:201]
	v_pk_fma_f32 v[204:205], v[128:129], s[4:5], v[190:191] op_sel:[0,0,1] op_sel_hi:[1,0,0]
	v_pk_fma_f32 v[190:191], v[128:129], s[4:5], v[190:191] op_sel:[0,0,1] op_sel_hi:[1,0,0] neg_lo:[0,0,1] neg_hi:[0,0,1]
	v_pk_mul_f32 v[192:193], v[130:131], s[30:31] op_sel_hi:[1,0]
	v_mov_b32_e32 v206, v204
	v_mov_b32_e32 v207, v191
	v_pk_add_f32 v[200:201], v[206:207], v[200:201]
	v_pk_fma_f32 v[206:207], v[134:135], s[24:25], v[192:193] op_sel:[0,0,1] op_sel_hi:[1,0,0]
	v_pk_fma_f32 v[192:193], v[134:135], s[24:25], v[192:193] op_sel:[0,0,1] op_sel_hi:[1,0,0] neg_lo:[0,0,1] neg_hi:[0,0,1]
	v_pk_mul_f32 v[194:195], v[104:105], s[34:35] op_sel_hi:[1,0]
	v_mov_b32_e32 v208, v206
	v_mov_b32_e32 v209, v193
	v_pk_add_f32 v[200:201], v[208:209], v[200:201]
	v_pk_fma_f32 v[208:209], v[102:103], s[6:7], v[194:195] op_sel:[0,0,1] op_sel_hi:[1,0,0]
	v_pk_fma_f32 v[194:195], v[102:103], s[6:7], v[194:195] op_sel:[0,0,1] op_sel_hi:[1,0,0] neg_lo:[0,0,1] neg_hi:[0,0,1]
	v_pk_mul_f32 v[196:197], v[50:51], s[16:17] op_sel_hi:[1,0]
	v_mov_b32_e32 v210, v208
	v_mov_b32_e32 v211, v195
	v_pk_add_f32 v[200:201], v[210:211], v[200:201]
	v_pk_fma_f32 v[210:211], v[44:45], s[14:15], v[196:197] op_sel:[0,0,1] op_sel_hi:[1,0,0]
	v_pk_fma_f32 v[196:197], v[44:45], s[14:15], v[196:197] op_sel:[0,0,1] op_sel_hi:[1,0,0] neg_lo:[0,0,1] neg_hi:[0,0,1]
	v_mov_b32_e32 v212, v210
	v_mov_b32_e32 v213, v197
	v_pk_add_f32 v[200:201], v[212:213], v[200:201]
	v_pk_mul_f32 v[114:115], v[114:115], s[26:27] op_sel_hi:[1,0]
	ds_write2_b64 v214, v[164:165], v[200:201] offset0:24 offset1:30
	v_pk_fma_f32 v[164:165], v[118:119], s[24:25], v[114:115] op_sel:[0,0,1] op_sel_hi:[1,0,0]
	v_pk_fma_f32 v[114:115], v[118:119], s[24:25], v[114:115] op_sel:[0,0,1] op_sel_hi:[1,0,0] neg_lo:[0,0,1] neg_hi:[0,0,1]
	v_pk_mul_f32 v[122:123], v[122:123], s[34:35] op_sel_hi:[1,0]
	v_mov_b32_e32 v118, v164
	v_mov_b32_e32 v119, v115
	v_pk_fma_f32 v[200:201], v[124:125], s[6:7], v[122:123] op_sel:[0,0,1] op_sel_hi:[1,0,0]
	v_pk_fma_f32 v[122:123], v[124:125], s[6:7], v[122:123] op_sel:[0,0,1] op_sel_hi:[1,0,0] neg_lo:[0,0,1] neg_hi:[0,0,1]
	v_pk_add_f32 v[118:119], v[36:37], v[118:119]
	v_mov_b32_e32 v124, v200
	v_mov_b32_e32 v125, v123
	v_pk_add_f32 v[118:119], v[124:125], v[118:119]
	v_pk_mul_f32 v[124:125], v[126:127], s[20:21] op_sel_hi:[1,0]
	v_pk_mul_f32 v[104:105], v[104:105], s[16:17] op_sel_hi:[1,0]
	v_pk_fma_f32 v[126:127], v[128:129], s[18:19], v[124:125] op_sel:[0,0,1] op_sel_hi:[1,0,0]
	v_pk_fma_f32 v[124:125], v[128:129], s[18:19], v[124:125] op_sel:[0,0,1] op_sel_hi:[1,0,0] neg_lo:[0,0,1] neg_hi:[0,0,1]
	v_mov_b32_e32 v128, v126
	v_mov_b32_e32 v129, v125
	v_pk_add_f32 v[118:119], v[128:129], v[118:119]
	v_pk_mul_f32 v[128:129], v[130:131], s[36:37] op_sel_hi:[1,0]
	v_pk_mul_f32 v[50:51], v[50:51], s[28:29] op_sel_hi:[1,0]
	v_pk_fma_f32 v[130:131], v[134:135], s[4:5], v[128:129] op_sel:[0,0,1] op_sel_hi:[1,0,0]
	v_pk_fma_f32 v[128:129], v[134:135], s[4:5], v[128:129] op_sel:[0,0,1] op_sel_hi:[1,0,0] neg_lo:[0,0,1] neg_hi:[0,0,1]
	v_mov_b32_e32 v134, v130
	v_mov_b32_e32 v135, v129
	v_pk_add_f32 v[118:119], v[134:135], v[118:119]
	v_pk_fma_f32 v[134:135], v[102:103], s[14:15], v[104:105] op_sel:[0,0,1] op_sel_hi:[1,0,0]
	v_pk_fma_f32 v[102:103], v[102:103], s[14:15], v[104:105] op_sel:[0,0,1] op_sel_hi:[1,0,0] neg_lo:[0,0,1] neg_hi:[0,0,1]
	v_mov_b32_e32 v104, v134
	v_mov_b32_e32 v105, v103
	v_pk_add_f32 v[104:105], v[104:105], v[118:119]
	v_pk_fma_f32 v[118:119], v[44:45], s[0:1], v[50:51] op_sel:[0,0,1] op_sel_hi:[1,0,0]
	v_pk_fma_f32 v[44:45], v[44:45], s[0:1], v[50:51] op_sel:[0,0,1] op_sel_hi:[1,0,0] neg_lo:[0,0,1] neg_hi:[0,0,1]
	v_mov_b32_e32 v50, v118
	v_mov_b32_e32 v51, v45
	;; [unrolled: 1-line block ×3, first 2 shown]
	v_pk_add_f32 v[50:51], v[50:51], v[104:105]
	v_pk_add_f32 v[104:105], v[36:37], v[114:115]
	v_mov_b32_e32 v123, v201
	v_pk_add_f32 v[104:105], v[122:123], v[104:105]
	v_mov_b32_e32 v125, v127
	;; [unrolled: 2-line block ×6, first 2 shown]
	v_mov_b32_e32 v111, v143
	ds_write2_b64 v214, v[50:51], v[44:45] offset0:36 offset1:42
	v_pk_add_f32 v[44:45], v[36:37], v[186:187]
	v_mov_b32_e32 v189, v203
	v_pk_add_f32 v[50:51], v[36:37], v[110:111]
	v_mov_b32_e32 v167, v169
	;; [unrolled: 2-line block ×10, first 2 shown]
	v_pk_add_f32 v[44:45], v[196:197], v[44:45]
	v_pk_add_f32 v[50:51], v[182:183], v[50:51]
	v_mov_b32_e32 v139, v141
	v_mov_b32_e32 v27, v25
	;; [unrolled: 1-line block ×3, first 2 shown]
	ds_write2_b64 v214, v[44:45], v[50:51] offset0:48 offset1:54
	v_pk_add_f32 v[44:45], v[36:37], v[138:139]
	v_mov_b32_e32 v145, v147
	v_pk_add_f32 v[24:25], v[36:37], v[26:27]
	v_mov_b32_e32 v43, v39
	v_pk_add_f32 v[0:1], v[36:37], v[2:3]
	v_mov_b32_e32 v7, v5
	v_pk_add_f32 v[44:45], v[144:145], v[44:45]
	v_mov_b32_e32 v149, v151
	v_pk_add_f32 v[24:25], v[42:43], v[24:25]
	v_mov_b32_e32 v101, v93
	v_pk_add_f32 v[0:1], v[6:7], v[0:1]
	v_mov_b32_e32 v11, v9
	v_pk_add_f32 v[44:45], v[148:149], v[44:45]
	v_mov_b32_e32 v153, v155
	v_pk_add_f32 v[24:25], v[100:101], v[24:25]
	v_mov_b32_e32 v109, v107
	v_pk_add_f32 v[0:1], v[10:11], v[0:1]
	v_mov_b32_e32 v15, v13
	v_pk_add_f32 v[44:45], v[152:153], v[44:45]
	v_mov_b32_e32 v157, v159
	v_pk_add_f32 v[24:25], v[108:109], v[24:25]
	v_mov_b32_e32 v117, v121
	v_pk_add_f32 v[0:1], v[14:15], v[0:1]
	v_mov_b32_e32 v19, v17
	v_pk_add_f32 v[44:45], v[156:157], v[44:45]
	v_mov_b32_e32 v161, v163
	v_pk_add_f32 v[24:25], v[116:117], v[24:25]
	v_mov_b32_e32 v133, v137
	v_pk_add_f32 v[0:1], v[18:19], v[0:1]
	v_mov_b32_e32 v23, v21
	v_pk_add_f32 v[44:45], v[160:161], v[44:45]
	v_pk_add_f32 v[24:25], v[132:133], v[24:25]
	;; [unrolled: 1-line block ×3, first 2 shown]
	ds_write2_b64 v214, v[44:45], v[24:25] offset0:60 offset1:66
	ds_write_b64 v214, v[0:1] offset:576
.LBB0_17:
	s_or_b64 exec, exec, s[2:3]
	s_waitcnt lgkmcnt(0)
	s_barrier
	ds_read2_b64 v[0:3], v67 offset1:78
	ds_read2_b64 v[4:7], v67 offset0:156 offset1:234
	v_add_u32_e32 v92, 0x800, v67
	ds_read2_b64 v[8:11], v92 offset0:56 offset1:134
	v_add_u32_e32 v93, 0xc00, v67
	;; [unrolled: 2-line block ×3, first 2 shown]
	s_waitcnt lgkmcnt(2)
	v_pk_mul_f32 v[22:23], v[32:33], v[4:5]
	ds_read2_b64 v[16:19], v100 offset0:112 offset1:190
	v_pk_fma_f32 v[24:25], v[98:99], v[4:5], v[22:23] op_sel:[0,0,1] op_sel_hi:[1,1,0]
	v_pk_fma_f32 v[4:5], v[98:99], v[4:5], v[22:23] op_sel:[0,0,1] op_sel_hi:[1,1,0] neg_lo:[0,0,1] neg_hi:[0,0,1]
	s_mov_b32 s0, 0x3f737871
	v_mov_b32_e32 v25, v5
	s_waitcnt lgkmcnt(2)
	v_pk_mul_f32 v[4:5], v[34:35], v[8:9]
	s_mov_b32 s2, 0x3f167918
	v_pk_fma_f32 v[22:23], v[96:97], v[8:9], v[4:5] op_sel:[0,0,1] op_sel_hi:[1,1,0]
	v_pk_fma_f32 v[4:5], v[96:97], v[8:9], v[4:5] op_sel:[0,0,1] op_sel_hi:[1,1,0] neg_lo:[0,0,1] neg_hi:[0,0,1]
	s_mov_b32 s4, 0x3e9e377a
	v_mov_b32_e32 v23, v5
	s_waitcnt lgkmcnt(1)
	v_pk_mul_f32 v[4:5], v[28:29], v[12:13]
	v_pk_add_f32 v[44:45], v[24:25], v[22:23] neg_lo:[0,1] neg_hi:[0,1]
	v_pk_fma_f32 v[8:9], v[94:95], v[12:13], v[4:5] op_sel:[0,0,1] op_sel_hi:[1,1,0]
	v_pk_fma_f32 v[4:5], v[94:95], v[12:13], v[4:5] op_sel:[0,0,1] op_sel_hi:[1,1,0] neg_lo:[0,0,1] neg_hi:[0,0,1]
	s_waitcnt lgkmcnt(0)
	v_mov_b32_e32 v9, v5
	v_pk_mul_f32 v[4:5], v[30:31], v[16:17]
	v_pk_add_f32 v[38:39], v[22:23], v[8:9] neg_lo:[0,1] neg_hi:[0,1]
	v_pk_fma_f32 v[12:13], v[56:57], v[16:17], v[4:5] op_sel:[0,0,1] op_sel_hi:[1,1,0]
	v_pk_fma_f32 v[4:5], v[56:57], v[16:17], v[4:5] op_sel:[0,0,1] op_sel_hi:[1,1,0] neg_lo:[0,0,1] neg_hi:[0,0,1]
	v_pk_add_f32 v[16:17], v[22:23], v[8:9]
	v_mov_b32_e32 v13, v5
	v_pk_add_f32 v[26:27], v[24:25], v[12:13] neg_lo:[0,1] neg_hi:[0,1]
	v_pk_add_f32 v[4:5], v[0:1], v[24:25]
	v_pk_fma_f32 v[16:17], v[16:17], 0.5, v[0:1] op_sel_hi:[1,0,1] neg_lo:[1,0,0] neg_hi:[1,0,0]
	v_pk_mul_f32 v[36:37], v[26:27], s[0:1] op_sel_hi:[1,0]
	v_pk_add_f32 v[50:51], v[12:13], v[8:9] neg_lo:[0,1] neg_hi:[0,1]
	v_pk_add_f32 v[4:5], v[4:5], v[22:23]
	v_pk_mul_f32 v[42:43], v[38:39], s[2:3] op_sel_hi:[1,0]
	v_pk_add_f32 v[44:45], v[44:45], v[50:51]
	v_pk_add_f32 v[50:51], v[16:17], v[36:37] op_sel:[0,1] op_sel_hi:[1,0] neg_lo:[0,1] neg_hi:[0,1]
	v_pk_add_f32 v[4:5], v[4:5], v[8:9]
	v_pk_add_f32 v[16:17], v[16:17], v[36:37] op_sel:[0,1] op_sel_hi:[1,0]
	v_pk_add_f32 v[36:37], v[50:51], v[42:43] op_sel:[0,1] op_sel_hi:[1,0] neg_lo:[0,1] neg_hi:[0,1]
	v_pk_add_f32 v[50:51], v[24:25], v[12:13]
	v_pk_add_f32 v[4:5], v[4:5], v[12:13]
	v_pk_fma_f32 v[0:1], v[50:51], 0.5, v[0:1] op_sel_hi:[1,0,1] neg_lo:[1,0,0] neg_hi:[1,0,0]
	v_pk_add_f32 v[22:23], v[22:23], v[24:25] neg_lo:[0,1] neg_hi:[0,1]
	v_pk_add_f32 v[8:9], v[8:9], v[12:13] neg_lo:[0,1] neg_hi:[0,1]
	v_pk_mul_f32 v[12:13], v[38:39], s[0:1] op_sel_hi:[1,0]
	v_pk_add_f32 v[8:9], v[22:23], v[8:9]
	v_pk_mul_f32 v[22:23], v[26:27], s[2:3] op_sel_hi:[1,0]
	v_pk_add_f32 v[24:25], v[0:1], v[12:13] op_sel:[0,1] op_sel_hi:[1,0]
	v_pk_add_f32 v[0:1], v[0:1], v[12:13] op_sel:[0,1] op_sel_hi:[1,0] neg_lo:[0,1] neg_hi:[0,1]
	v_pk_add_f32 v[16:17], v[16:17], v[42:43] op_sel:[0,1] op_sel_hi:[1,0]
	v_pk_add_f32 v[0:1], v[0:1], v[22:23] op_sel:[0,1] op_sel_hi:[1,0]
	v_pk_add_f32 v[12:13], v[24:25], v[22:23] op_sel:[0,1] op_sel_hi:[1,0] neg_lo:[0,1] neg_hi:[0,1]
	v_mov_b32_e32 v43, v17
	v_mov_b32_e32 v22, v12
	;; [unrolled: 1-line block ×5, first 2 shown]
	v_pk_mul_f32 v[12:13], v[32:33], v[6:7]
	v_pk_fma_f32 v[22:23], v[8:9], s[4:5], v[22:23] op_sel_hi:[1,0,1]
	v_pk_fma_f32 v[0:1], v[8:9], s[4:5], v[0:1] op_sel_hi:[1,0,1]
	;; [unrolled: 1-line block ×3, first 2 shown]
	v_pk_fma_f32 v[16:17], v[98:99], v[6:7], v[12:13] op_sel:[0,0,1] op_sel_hi:[1,1,0]
	v_pk_fma_f32 v[6:7], v[98:99], v[6:7], v[12:13] op_sel:[0,0,1] op_sel_hi:[1,1,0] neg_lo:[0,0,1] neg_hi:[0,0,1]
	v_mov_b32_e32 v42, v36
	v_mov_b32_e32 v17, v7
	v_pk_mul_f32 v[6:7], v[34:35], v[10:11]
	v_pk_fma_f32 v[42:43], v[44:45], s[4:5], v[42:43] op_sel_hi:[1,0,1]
	v_pk_fma_f32 v[12:13], v[96:97], v[10:11], v[6:7] op_sel:[0,0,1] op_sel_hi:[1,1,0]
	v_pk_fma_f32 v[6:7], v[96:97], v[10:11], v[6:7] op_sel:[0,0,1] op_sel_hi:[1,1,0] neg_lo:[0,0,1] neg_hi:[0,0,1]
	s_barrier
	v_mov_b32_e32 v13, v7
	v_pk_mul_f32 v[6:7], v[28:29], v[14:15]
	v_pk_add_f32 v[26:27], v[16:17], v[12:13] neg_lo:[0,1] neg_hi:[0,1]
	v_pk_fma_f32 v[10:11], v[94:95], v[14:15], v[6:7] op_sel:[0,0,1] op_sel_hi:[1,1,0]
	v_pk_fma_f32 v[6:7], v[94:95], v[14:15], v[6:7] op_sel:[0,0,1] op_sel_hi:[1,1,0] neg_lo:[0,0,1] neg_hi:[0,0,1]
	s_nop 0
	v_mov_b32_e32 v11, v7
	v_pk_mul_f32 v[6:7], v[30:31], v[18:19]
	ds_write2_b64 v67, v[4:5], v[42:43] offset1:78
	ds_write2_b64 v67, v[22:23], v[0:1] offset0:156 offset1:234
	v_pk_fma_f32 v[14:15], v[56:57], v[18:19], v[6:7] op_sel:[0,0,1] op_sel_hi:[1,1,0]
	v_pk_fma_f32 v[6:7], v[56:57], v[18:19], v[6:7] op_sel:[0,0,1] op_sel_hi:[1,1,0] neg_lo:[0,0,1] neg_hi:[0,0,1]
	v_pk_add_f32 v[0:1], v[2:3], v[16:17]
	v_mov_b32_e32 v15, v7
	v_pk_add_f32 v[6:7], v[12:13], v[10:11]
	v_pk_add_f32 v[18:19], v[16:17], v[14:15] neg_lo:[0,1] neg_hi:[0,1]
	v_pk_fma_f32 v[6:7], v[6:7], 0.5, v[2:3] op_sel_hi:[1,0,1] neg_lo:[1,0,0] neg_hi:[1,0,0]
	v_pk_add_f32 v[28:29], v[14:15], v[10:11] neg_lo:[0,1] neg_hi:[0,1]
	v_pk_add_f32 v[24:25], v[12:13], v[10:11] neg_lo:[0,1] neg_hi:[0,1]
	v_pk_add_f32 v[26:27], v[26:27], v[28:29]
	v_pk_fma_f32 v[28:29], v[18:19], s[0:1], v[6:7] op_sel:[1,0,0] op_sel_hi:[0,0,1]
	v_pk_fma_f32 v[6:7], v[18:19], s[0:1], v[6:7] op_sel:[1,0,0] op_sel_hi:[0,0,1] neg_lo:[1,0,0] neg_hi:[1,0,0]
	v_pk_add_f32 v[0:1], v[0:1], v[12:13]
	v_pk_fma_f32 v[6:7], v[24:25], s[2:3], v[6:7] op_sel:[1,0,0] op_sel_hi:[0,0,1] neg_lo:[1,0,0] neg_hi:[1,0,0]
	v_pk_fma_f32 v[28:29], v[24:25], s[2:3], v[28:29] op_sel:[1,0,0] op_sel_hi:[0,0,1]
	v_pk_add_f32 v[0:1], v[0:1], v[10:11]
	v_mov_b32_e32 v31, v7
	v_pk_add_f32 v[0:1], v[0:1], v[14:15]
	v_mov_b32_e32 v7, v29
	v_pk_add_f32 v[4:5], v[16:17], v[14:15]
	ds_write2_b64 v92, v[8:9], v[0:1] offset0:56 offset1:134
	v_pk_fma_f32 v[0:1], v[26:27], s[4:5], v[6:7] op_sel_hi:[1,0,1]
	v_pk_fma_f32 v[2:3], v[4:5], 0.5, v[2:3] op_sel_hi:[1,0,1] neg_lo:[1,0,0] neg_hi:[1,0,0]
	v_pk_add_f32 v[4:5], v[12:13], v[16:17] neg_lo:[0,1] neg_hi:[0,1]
	v_pk_add_f32 v[6:7], v[10:11], v[14:15] neg_lo:[0,1] neg_hi:[0,1]
	v_mov_b32_e32 v30, v28
	v_pk_add_f32 v[4:5], v[4:5], v[6:7]
	v_pk_fma_f32 v[6:7], v[24:25], s[0:1], v[2:3] op_sel:[1,0,0] op_sel_hi:[0,0,1] neg_lo:[1,0,0] neg_hi:[1,0,0]
	v_pk_fma_f32 v[2:3], v[24:25], s[0:1], v[2:3] op_sel:[1,0,0] op_sel_hi:[0,0,1]
	v_pk_fma_f32 v[2:3], v[18:19], s[2:3], v[2:3] op_sel:[1,0,0] op_sel_hi:[0,0,1] neg_lo:[1,0,0] neg_hi:[1,0,0]
	v_pk_fma_f32 v[6:7], v[18:19], s[2:3], v[6:7] op_sel:[1,0,0] op_sel_hi:[0,0,1]
	v_mov_b32_e32 v9, v3
	v_mov_b32_e32 v3, v7
	;; [unrolled: 1-line block ×3, first 2 shown]
	v_pk_fma_f32 v[2:3], v[4:5], s[4:5], v[2:3] op_sel_hi:[1,0,1]
	v_pk_fma_f32 v[30:31], v[26:27], s[4:5], v[30:31] op_sel_hi:[1,0,1]
	;; [unrolled: 1-line block ×3, first 2 shown]
	ds_write2_b64 v93, v[0:1], v[2:3] offset0:84 offset1:162
	ds_write2_b64 v100, v[8:9], v[30:31] offset0:112 offset1:190
	s_waitcnt lgkmcnt(0)
	s_barrier
	ds_read2_b64 v[0:3], v92 offset0:56 offset1:134
	ds_read2_b64 v[4:7], v67 offset1:78
	ds_read2_b64 v[8:11], v93 offset0:84 offset1:162
	v_mad_u64_u32 v[12:13], s[0:1], s10, v66, 0
	s_waitcnt lgkmcnt(2)
	v_pk_mul_f32 v[14:15], v[90:91], v[2:3]
	v_mov_b32_e32 v20, s12
	v_pk_fma_f32 v[16:17], v[54:55], v[2:3], v[14:15] op_sel:[0,0,1] op_sel_hi:[1,1,0]
	v_pk_fma_f32 v[2:3], v[54:55], v[2:3], v[14:15] op_sel:[0,0,1] op_sel_hi:[1,1,0] neg_lo:[0,0,1] neg_hi:[0,0,1]
	s_waitcnt lgkmcnt(0)
	v_pk_mul_f32 v[24:25], v[86:87], v[10:11]
	v_mov_b32_e32 v17, v3
	v_pk_add_f32 v[14:15], v[4:5], v[16:17] neg_lo:[0,1] neg_hi:[0,1]
	v_pk_mul_f32 v[2:3], v[88:89], v[8:9]
	v_pk_fma_f32 v[16:17], v[4:5], 2.0, v[14:15] op_sel_hi:[1,0,1] neg_lo:[0,0,1] neg_hi:[0,0,1]
	v_pk_fma_f32 v[4:5], v[52:53], v[8:9], v[2:3] op_sel:[0,0,1] op_sel_hi:[1,1,0]
	v_pk_fma_f32 v[2:3], v[52:53], v[8:9], v[2:3] op_sel:[0,0,1] op_sel_hi:[1,1,0] neg_lo:[0,0,1] neg_hi:[0,0,1]
	v_pk_fma_f32 v[26:27], v[48:49], v[10:11], v[24:25] op_sel:[0,0,1] op_sel_hi:[1,1,0]
	v_mov_b32_e32 v5, v3
	v_pk_add_f32 v[18:19], v[6:7], v[4:5] neg_lo:[0,1] neg_hi:[0,1]
	ds_read2_b64 v[2:5], v67 offset0:156 offset1:234
	v_pk_fma_f32 v[22:23], v[6:7], 2.0, v[18:19] op_sel_hi:[1,0,1] neg_lo:[0,0,1] neg_hi:[0,0,1]
	ds_read2_b64 v[6:9], v100 offset0:112 offset1:190
	v_pk_fma_f32 v[10:11], v[48:49], v[10:11], v[24:25] op_sel:[0,0,1] op_sel_hi:[1,1,0] neg_lo:[0,0,1] neg_hi:[0,0,1]
	v_mov_b32_e32 v21, s13
	v_mov_b32_e32 v27, v11
	s_waitcnt lgkmcnt(1)
	v_pk_add_f32 v[10:11], v[2:3], v[26:27] neg_lo:[0,1] neg_hi:[0,1]
	s_waitcnt lgkmcnt(0)
	v_pk_mul_f32 v[24:25], v[84:85], v[6:7]
	v_pk_fma_f32 v[2:3], v[2:3], 2.0, v[10:11] op_sel_hi:[1,0,1] neg_lo:[0,0,1] neg_hi:[0,0,1]
	v_pk_fma_f32 v[26:27], v[46:47], v[6:7], v[24:25] op_sel:[0,0,1] op_sel_hi:[1,1,0]
	v_pk_fma_f32 v[6:7], v[46:47], v[6:7], v[24:25] op_sel:[0,0,1] op_sel_hi:[1,1,0] neg_lo:[0,0,1] neg_hi:[0,0,1]
	v_pk_mul_f32 v[24:25], v[82:83], v[8:9]
	v_mov_b32_e32 v27, v7
	v_pk_add_f32 v[6:7], v[4:5], v[26:27] neg_lo:[0,1] neg_hi:[0,1]
	v_pk_fma_f32 v[26:27], v[40:41], v[8:9], v[24:25] op_sel:[0,0,1] op_sel_hi:[1,1,0]
	v_pk_fma_f32 v[8:9], v[40:41], v[8:9], v[24:25] op_sel:[0,0,1] op_sel_hi:[1,1,0] neg_lo:[0,0,1] neg_hi:[0,0,1]
	v_pk_fma_f32 v[4:5], v[4:5], 2.0, v[6:7] op_sel_hi:[1,0,1] neg_lo:[0,0,1] neg_hi:[0,0,1]
	v_mov_b32_e32 v27, v9
	v_pk_add_f32 v[8:9], v[0:1], v[26:27] neg_lo:[0,1] neg_hi:[0,1]
	s_mul_i32 s4, s9, 0xc30
	v_pk_fma_f32 v[0:1], v[0:1], 2.0, v[8:9] op_sel_hi:[1,0,1] neg_lo:[0,0,1] neg_hi:[0,0,1]
	ds_write2_b64 v67, v[16:17], v[22:23] offset1:78
	ds_write_b64 v67, v[18:19] offset:3744
	ds_write_b64 v59, v[10:11] offset:3120
	ds_write2_b64 v67, v[2:3], v[4:5] offset0:156 offset1:234
	ds_write_b64 v113, v[6:7] offset:3120
	ds_write2_b64 v92, v[0:1], v[14:15] offset0:56 offset1:134
	ds_write_b64 v112, v[8:9] offset:3120
	s_waitcnt lgkmcnt(0)
	s_barrier
	ds_read2_b64 v[0:3], v67 offset1:78
	v_mov_b32_e32 v4, v13
	v_mad_u64_u32 v[4:5], s[0:1], s11, v66, v[4:5]
	v_mov_b32_e32 v13, v4
	s_waitcnt lgkmcnt(0)
	v_mul_f32_e32 v4, v81, v1
	v_fmac_f32_e32 v4, v80, v0
	v_mul_f32_e32 v0, v81, v0
	s_mov_b32 s0, 0x15015015
	v_fma_f32 v0, v80, v1, -v0
	s_mov_b32 s1, 0x3f550150
	v_cvt_f64_f32_e32 v[0:1], v0
	v_cvt_f64_f32_e32 v[4:5], v4
	v_mul_f64 v[0:1], v[0:1], s[0:1]
	v_mul_f64 v[4:5], v[4:5], s[0:1]
	v_cvt_f32_f64_e32 v9, v[0:1]
	v_mad_u64_u32 v[0:1], s[2:3], s8, v58, 0
	v_cvt_f32_f64_e32 v8, v[4:5]
	v_mov_b32_e32 v4, v1
	v_mad_u64_u32 v[10:11], s[2:3], s9, v58, v[4:5]
	ds_read2_b64 v[4:7], v92 offset0:56 offset1:134
	v_mov_b32_e32 v1, v10
	v_lshl_add_u64 v[10:11], v[12:13], 3, v[20:21]
	v_lshl_add_u64 v[0:1], v[0:1], 3, v[10:11]
	global_store_dwordx2 v[0:1], v[8:9], off
	s_waitcnt lgkmcnt(0)
	v_mul_f32_e32 v8, v79, v7
	v_fmac_f32_e32 v8, v78, v6
	v_mul_f32_e32 v6, v79, v6
	v_fma_f32 v6, v78, v7, -v6
	v_cvt_f64_f32_e32 v[8:9], v8
	v_cvt_f64_f32_e32 v[6:7], v6
	v_mul_f64 v[8:9], v[8:9], s[0:1]
	v_mul_f64 v[6:7], v[6:7], s[0:1]
	v_cvt_f32_f64_e32 v8, v[8:9]
	v_cvt_f32_f64_e32 v9, v[6:7]
	v_mul_f32_e32 v6, v77, v3
	v_fmac_f32_e32 v6, v76, v2
	v_mul_f32_e32 v2, v77, v2
	v_mov_b32_e32 v14, 0xc30
	v_fma_f32 v2, v76, v3, -v2
	v_mad_u64_u32 v[0:1], s[2:3], s8, v14, v[0:1]
	v_cvt_f64_f32_e32 v[6:7], v6
	v_cvt_f64_f32_e32 v[2:3], v2
	v_add_u32_e32 v1, s4, v1
	v_mul_f64 v[6:7], v[6:7], s[0:1]
	v_mul_f64 v[2:3], v[2:3], s[0:1]
	v_mov_b32_e32 v15, 0xfffff640
	global_store_dwordx2 v[0:1], v[8:9], off
	v_cvt_f32_f64_e32 v6, v[6:7]
	v_cvt_f32_f64_e32 v7, v[2:3]
	v_mad_u64_u32 v[10:11], s[2:3], s8, v15, v[0:1]
	ds_read2_b64 v[0:3], v93 offset0:84 offset1:162
	s_mul_i32 s2, s9, 0xfffff640
	s_sub_i32 s5, s2, s8
	v_add_u32_e32 v11, s5, v11
	global_store_dwordx2 v[10:11], v[6:7], off
	s_waitcnt lgkmcnt(0)
	v_mul_f32_e32 v6, v75, v1
	v_fmac_f32_e32 v6, v74, v0
	v_cvt_f64_f32_e32 v[6:7], v6
	v_mul_f64 v[6:7], v[6:7], s[0:1]
	v_cvt_f32_f64_e32 v12, v[6:7]
	ds_read2_b64 v[6:9], v67 offset0:156 offset1:234
	v_mul_f32_e32 v0, v75, v0
	v_fma_f32 v0, v74, v1, -v0
	v_cvt_f64_f32_e32 v[0:1], v0
	v_mul_f64 v[0:1], v[0:1], s[0:1]
	v_cvt_f32_f64_e32 v13, v[0:1]
	v_mad_u64_u32 v[0:1], s[2:3], s8, v14, v[10:11]
	s_waitcnt lgkmcnt(0)
	v_mul_f32_e32 v10, v69, v7
	v_fmac_f32_e32 v10, v68, v6
	v_mul_f32_e32 v6, v69, v6
	v_fma_f32 v6, v68, v7, -v6
	v_cvt_f64_f32_e32 v[10:11], v10
	v_cvt_f64_f32_e32 v[6:7], v6
	v_add_u32_e32 v1, s4, v1
	v_mul_f64 v[10:11], v[10:11], s[0:1]
	v_mul_f64 v[6:7], v[6:7], s[0:1]
	global_store_dwordx2 v[0:1], v[12:13], off
	v_cvt_f32_f64_e32 v10, v[10:11]
	v_cvt_f32_f64_e32 v11, v[6:7]
	v_mad_u64_u32 v[0:1], s[2:3], s8, v15, v[0:1]
	v_mul_f32_e32 v6, v73, v3
	v_add_u32_e32 v1, s5, v1
	v_fmac_f32_e32 v6, v72, v2
	v_mul_f32_e32 v2, v73, v2
	global_store_dwordx2 v[0:1], v[10:11], off
	v_fma_f32 v2, v72, v3, -v2
	v_mad_u64_u32 v[10:11], s[2:3], s8, v14, v[0:1]
	v_mul_f32_e32 v0, v71, v9
	v_cvt_f64_f32_e32 v[6:7], v6
	v_cvt_f64_f32_e32 v[2:3], v2
	v_fmac_f32_e32 v0, v70, v8
	v_mul_f64 v[6:7], v[6:7], s[0:1]
	v_mul_f64 v[2:3], v[2:3], s[0:1]
	v_cvt_f64_f32_e32 v[0:1], v0
	v_cvt_f32_f64_e32 v6, v[6:7]
	v_cvt_f32_f64_e32 v7, v[2:3]
	v_add_u32_e32 v11, s4, v11
	v_mul_f64 v[0:1], v[0:1], s[0:1]
	global_store_dwordx2 v[10:11], v[6:7], off
	v_cvt_f32_f64_e32 v6, v[0:1]
	v_mul_f32_e32 v0, v71, v8
	v_fma_f32 v0, v70, v9, -v0
	v_cvt_f64_f32_e32 v[0:1], v0
	v_mul_f64 v[0:1], v[0:1], s[0:1]
	v_cvt_f32_f64_e32 v7, v[0:1]
	ds_read2_b64 v[0:3], v100 offset0:112 offset1:190
	v_mad_u64_u32 v[8:9], s[2:3], s8, v15, v[10:11]
	v_add_u32_e32 v9, s5, v9
	global_store_dwordx2 v[8:9], v[6:7], off
	s_waitcnt lgkmcnt(0)
	v_mul_f32_e32 v6, v65, v1
	v_fmac_f32_e32 v6, v64, v0
	v_mul_f32_e32 v0, v65, v0
	v_fma_f32 v0, v64, v1, -v0
	v_cvt_f64_f32_e32 v[6:7], v6
	v_cvt_f64_f32_e32 v[0:1], v0
	v_mul_f64 v[6:7], v[6:7], s[0:1]
	v_mul_f64 v[0:1], v[0:1], s[0:1]
	v_cvt_f32_f64_e32 v6, v[6:7]
	v_cvt_f32_f64_e32 v7, v[0:1]
	v_mad_u64_u32 v[0:1], s[2:3], s8, v14, v[8:9]
	v_add_u32_e32 v1, s4, v1
	global_store_dwordx2 v[0:1], v[6:7], off
	v_mul_f32_e32 v6, v63, v5
	v_fmac_f32_e32 v6, v62, v4
	v_mul_f32_e32 v4, v63, v4
	v_fma_f32 v4, v62, v5, -v4
	v_cvt_f64_f32_e32 v[6:7], v6
	v_cvt_f64_f32_e32 v[4:5], v4
	v_mul_f64 v[6:7], v[6:7], s[0:1]
	v_mul_f64 v[4:5], v[4:5], s[0:1]
	v_cvt_f32_f64_e32 v6, v[6:7]
	v_cvt_f32_f64_e32 v7, v[4:5]
	v_mul_f32_e32 v4, v61, v3
	v_fmac_f32_e32 v4, v60, v2
	v_mul_f32_e32 v2, v61, v2
	v_mad_u64_u32 v[0:1], s[2:3], s8, v15, v[0:1]
	v_fma_f32 v2, v60, v3, -v2
	v_add_u32_e32 v1, s5, v1
	v_cvt_f64_f32_e32 v[4:5], v4
	v_cvt_f64_f32_e32 v[2:3], v2
	global_store_dwordx2 v[0:1], v[6:7], off
	v_mul_f64 v[4:5], v[4:5], s[0:1]
	v_mul_f64 v[2:3], v[2:3], s[0:1]
	v_mad_u64_u32 v[0:1], s[0:1], s8, v14, v[0:1]
	v_cvt_f32_f64_e32 v4, v[4:5]
	v_cvt_f32_f64_e32 v5, v[2:3]
	v_add_u32_e32 v1, s4, v1
	global_store_dwordx2 v[0:1], v[4:5], off
.LBB0_18:
	s_endpgm
	.section	.rodata,"a",@progbits
	.p2align	6, 0x0
	.amdhsa_kernel bluestein_single_back_len780_dim1_sp_op_CI_CI
		.amdhsa_group_segment_fixed_size 18720
		.amdhsa_private_segment_fixed_size 0
		.amdhsa_kernarg_size 104
		.amdhsa_user_sgpr_count 2
		.amdhsa_user_sgpr_dispatch_ptr 0
		.amdhsa_user_sgpr_queue_ptr 0
		.amdhsa_user_sgpr_kernarg_segment_ptr 1
		.amdhsa_user_sgpr_dispatch_id 0
		.amdhsa_user_sgpr_kernarg_preload_length 0
		.amdhsa_user_sgpr_kernarg_preload_offset 0
		.amdhsa_user_sgpr_private_segment_size 0
		.amdhsa_uses_dynamic_stack 0
		.amdhsa_enable_private_segment 0
		.amdhsa_system_sgpr_workgroup_id_x 1
		.amdhsa_system_sgpr_workgroup_id_y 0
		.amdhsa_system_sgpr_workgroup_id_z 0
		.amdhsa_system_sgpr_workgroup_info 0
		.amdhsa_system_vgpr_workitem_id 0
		.amdhsa_next_free_vgpr 215
		.amdhsa_next_free_sgpr 46
		.amdhsa_accum_offset 216
		.amdhsa_reserve_vcc 1
		.amdhsa_float_round_mode_32 0
		.amdhsa_float_round_mode_16_64 0
		.amdhsa_float_denorm_mode_32 3
		.amdhsa_float_denorm_mode_16_64 3
		.amdhsa_dx10_clamp 1
		.amdhsa_ieee_mode 1
		.amdhsa_fp16_overflow 0
		.amdhsa_tg_split 0
		.amdhsa_exception_fp_ieee_invalid_op 0
		.amdhsa_exception_fp_denorm_src 0
		.amdhsa_exception_fp_ieee_div_zero 0
		.amdhsa_exception_fp_ieee_overflow 0
		.amdhsa_exception_fp_ieee_underflow 0
		.amdhsa_exception_fp_ieee_inexact 0
		.amdhsa_exception_int_div_zero 0
	.end_amdhsa_kernel
	.text
.Lfunc_end0:
	.size	bluestein_single_back_len780_dim1_sp_op_CI_CI, .Lfunc_end0-bluestein_single_back_len780_dim1_sp_op_CI_CI
                                        ; -- End function
	.section	.AMDGPU.csdata,"",@progbits
; Kernel info:
; codeLenInByte = 13204
; NumSgprs: 52
; NumVgprs: 215
; NumAgprs: 0
; TotalNumVgprs: 215
; ScratchSize: 0
; MemoryBound: 0
; FloatMode: 240
; IeeeMode: 1
; LDSByteSize: 18720 bytes/workgroup (compile time only)
; SGPRBlocks: 6
; VGPRBlocks: 26
; NumSGPRsForWavesPerEU: 52
; NumVGPRsForWavesPerEU: 215
; AccumOffset: 216
; Occupancy: 2
; WaveLimiterHint : 1
; COMPUTE_PGM_RSRC2:SCRATCH_EN: 0
; COMPUTE_PGM_RSRC2:USER_SGPR: 2
; COMPUTE_PGM_RSRC2:TRAP_HANDLER: 0
; COMPUTE_PGM_RSRC2:TGID_X_EN: 1
; COMPUTE_PGM_RSRC2:TGID_Y_EN: 0
; COMPUTE_PGM_RSRC2:TGID_Z_EN: 0
; COMPUTE_PGM_RSRC2:TIDIG_COMP_CNT: 0
; COMPUTE_PGM_RSRC3_GFX90A:ACCUM_OFFSET: 53
; COMPUTE_PGM_RSRC3_GFX90A:TG_SPLIT: 0
	.text
	.p2alignl 6, 3212836864
	.fill 256, 4, 3212836864
	.type	__hip_cuid_4d87b247dc573680,@object ; @__hip_cuid_4d87b247dc573680
	.section	.bss,"aw",@nobits
	.globl	__hip_cuid_4d87b247dc573680
__hip_cuid_4d87b247dc573680:
	.byte	0                               ; 0x0
	.size	__hip_cuid_4d87b247dc573680, 1

	.ident	"AMD clang version 19.0.0git (https://github.com/RadeonOpenCompute/llvm-project roc-6.4.0 25133 c7fe45cf4b819c5991fe208aaa96edf142730f1d)"
	.section	".note.GNU-stack","",@progbits
	.addrsig
	.addrsig_sym __hip_cuid_4d87b247dc573680
	.amdgpu_metadata
---
amdhsa.kernels:
  - .agpr_count:     0
    .args:
      - .actual_access:  read_only
        .address_space:  global
        .offset:         0
        .size:           8
        .value_kind:     global_buffer
      - .actual_access:  read_only
        .address_space:  global
        .offset:         8
        .size:           8
        .value_kind:     global_buffer
      - .actual_access:  read_only
        .address_space:  global
        .offset:         16
        .size:           8
        .value_kind:     global_buffer
      - .actual_access:  read_only
        .address_space:  global
        .offset:         24
        .size:           8
        .value_kind:     global_buffer
      - .actual_access:  read_only
        .address_space:  global
        .offset:         32
        .size:           8
        .value_kind:     global_buffer
      - .offset:         40
        .size:           8
        .value_kind:     by_value
      - .address_space:  global
        .offset:         48
        .size:           8
        .value_kind:     global_buffer
      - .address_space:  global
        .offset:         56
        .size:           8
        .value_kind:     global_buffer
      - .address_space:  global
        .offset:         64
        .size:           8
        .value_kind:     global_buffer
      - .address_space:  global
        .offset:         72
        .size:           8
        .value_kind:     global_buffer
      - .offset:         80
        .size:           4
        .value_kind:     by_value
      - .address_space:  global
        .offset:         88
        .size:           8
        .value_kind:     global_buffer
      - .address_space:  global
        .offset:         96
        .size:           8
        .value_kind:     global_buffer
    .group_segment_fixed_size: 18720
    .kernarg_segment_align: 8
    .kernarg_segment_size: 104
    .language:       OpenCL C
    .language_version:
      - 2
      - 0
    .max_flat_workgroup_size: 234
    .name:           bluestein_single_back_len780_dim1_sp_op_CI_CI
    .private_segment_fixed_size: 0
    .sgpr_count:     52
    .sgpr_spill_count: 0
    .symbol:         bluestein_single_back_len780_dim1_sp_op_CI_CI.kd
    .uniform_work_group_size: 1
    .uses_dynamic_stack: false
    .vgpr_count:     215
    .vgpr_spill_count: 0
    .wavefront_size: 64
amdhsa.target:   amdgcn-amd-amdhsa--gfx950
amdhsa.version:
  - 1
  - 2
...

	.end_amdgpu_metadata
